;; amdgpu-corpus repo=ROCm/rocFFT kind=compiled arch=gfx950 opt=O3
	.text
	.amdgcn_target "amdgcn-amd-amdhsa--gfx950"
	.amdhsa_code_object_version 6
	.protected	bluestein_single_fwd_len480_dim1_dp_op_CI_CI ; -- Begin function bluestein_single_fwd_len480_dim1_dp_op_CI_CI
	.globl	bluestein_single_fwd_len480_dim1_dp_op_CI_CI
	.p2align	8
	.type	bluestein_single_fwd_len480_dim1_dp_op_CI_CI,@function
bluestein_single_fwd_len480_dim1_dp_op_CI_CI: ; @bluestein_single_fwd_len480_dim1_dp_op_CI_CI
; %bb.0:
	s_load_dwordx4 s[4:7], s[0:1], 0x28
	v_lshrrev_b32_e32 v1, 4, v0
	v_mov_b32_e32 v109, 0
	v_lshl_or_b32 v6, s2, 2, v1
	v_mov_b32_e32 v7, v109
	s_waitcnt lgkmcnt(0)
	v_cmp_gt_u64_e32 vcc, s[4:5], v[6:7]
	s_and_saveexec_b64 s[2:3], vcc
	s_cbranch_execz .LBB0_10
; %bb.1:
	s_load_dwordx4 s[8:11], s[0:1], 0x0
	s_load_dwordx4 s[16:19], s[0:1], 0x18
	s_load_dwordx2 s[12:13], s[0:1], 0x38
	v_and_b32_e32 v158, 15, v0
	v_mul_u32_u24_e32 v159, 0x1e0, v1
	v_accvgpr_write_b32 a82, v6
	s_waitcnt lgkmcnt(0)
	s_load_dwordx4 s[0:3], s[16:17], 0x0
	v_mov_b32_e32 v2, s6
	v_mov_b32_e32 v3, s7
	v_lshlrev_b32_e32 v14, 4, v158
	global_load_dwordx4 v[10:13], v14, s[8:9]
	s_waitcnt lgkmcnt(0)
	v_mad_u64_u32 v[0:1], s[14:15], s2, v6, 0
	v_mov_b32_e32 v4, v1
	v_mad_u64_u32 v[4:5], s[2:3], s3, v6, v[4:5]
	v_mov_b32_e32 v1, v4
	;; [unrolled: 2-line block ×4, first 2 shown]
	v_lshl_add_u64 v[0:1], v[0:1], 4, v[2:3]
	v_lshl_add_u64 v[8:9], v[4:5], 4, v[0:1]
	global_load_dwordx4 v[0:3], v[8:9], off
	v_or_b32_e32 v6, v159, v158
	v_lshlrev_b32_e32 v208, 4, v6
	s_load_dwordx4 s[4:7], s[18:19], 0x0
	v_lshl_or_b32 v228, v159, 4, v14
	v_accvgpr_write_b32 a124, v14
	s_mov_b32 s16, 0x134454ff
	s_mov_b32 s17, 0x3fee6f0e
	;; [unrolled: 1-line block ×6, first 2 shown]
	v_or_b32_e32 v114, 16, v158
	v_or_b32_e32 v115, 32, v158
	;; [unrolled: 1-line block ×3, first 2 shown]
	v_accvgpr_write_b32 a83, v159
	v_cmp_gt_u64_e32 vcc, 60, v[108:109]
                                        ; implicit-def: $vgpr240_vgpr241
                                        ; implicit-def: $vgpr236_vgpr237
	s_waitcnt vmcnt(1)
	v_accvgpr_write_b32 a45, v13
	v_accvgpr_write_b32 a44, v12
	;; [unrolled: 1-line block ×4, first 2 shown]
	s_waitcnt vmcnt(0)
	v_mul_f64 v[4:5], v[2:3], v[12:13]
	v_fmac_f64_e32 v[4:5], v[0:1], v[10:11]
	v_mul_f64 v[0:1], v[0:1], v[12:13]
	v_fma_f64 v[6:7], v[2:3], v[10:11], -v[0:1]
	ds_write_b128 v208, v[4:7]
	v_mov_b32_e32 v6, 0x300
	v_mad_u64_u32 v[4:5], s[2:3], s0, v6, v[8:9]
	s_mul_i32 s2, s1, 0x300
	s_nop 0
	v_add_u32_e32 v5, s2, v5
	global_load_dwordx4 v[0:3], v[4:5], off
	global_load_dwordx4 v[10:13], v14, s[8:9] offset:768
	v_mad_u64_u32 v[4:5], s[14:15], s0, v6, v[4:5]
	v_add_u32_e32 v5, s2, v5
	v_or_b32_e32 v7, 0x120, v158
	v_lshlrev_b32_e32 v7, 4, v7
	s_mulk_i32 s1, 0xe600
	s_sub_i32 s1, s1, s0
	s_waitcnt vmcnt(0)
	v_mul_f64 v[8:9], v[2:3], v[12:13]
	v_fmac_f64_e32 v[8:9], v[0:1], v[10:11]
	v_mul_f64 v[0:1], v[0:1], v[12:13]
	scratch_store_dwordx4 off, v[10:13], off offset:40 ; 16-byte Folded Spill
	s_nop 1
	v_fma_f64 v[10:11], v[2:3], v[10:11], -v[0:1]
	ds_write_b128 v228, v[8:11] offset:768
	global_load_dwordx4 v[0:3], v[4:5], off
	global_load_dwordx4 v[10:13], v14, s[8:9] offset:1536
	v_mad_u64_u32 v[4:5], s[14:15], s0, v6, v[4:5]
	v_add_u32_e32 v5, s2, v5
	s_waitcnt vmcnt(0)
	v_mul_f64 v[8:9], v[2:3], v[12:13]
	v_fmac_f64_e32 v[8:9], v[0:1], v[10:11]
	v_mul_f64 v[0:1], v[0:1], v[12:13]
	scratch_store_dwordx4 off, v[10:13], off offset:72 ; 16-byte Folded Spill
	s_nop 1
	v_fma_f64 v[10:11], v[2:3], v[10:11], -v[0:1]
	ds_write_b128 v228, v[8:11] offset:1536
	global_load_dwordx4 v[0:3], v[4:5], off
	global_load_dwordx4 v[10:13], v14, s[8:9] offset:2304
	v_mad_u64_u32 v[4:5], s[14:15], s0, v6, v[4:5]
	v_add_u32_e32 v5, s2, v5
	s_waitcnt vmcnt(0)
	v_mul_f64 v[8:9], v[2:3], v[12:13]
	v_fmac_f64_e32 v[8:9], v[0:1], v[10:11]
	v_mul_f64 v[0:1], v[0:1], v[12:13]
	scratch_store_dwordx4 off, v[10:13], off offset:56 ; 16-byte Folded Spill
	s_nop 1
	v_fma_f64 v[10:11], v[2:3], v[10:11], -v[0:1]
	ds_write_b128 v228, v[8:11] offset:2304
	global_load_dwordx4 v[0:3], v[4:5], off
	global_load_dwordx4 v[10:13], v14, s[8:9] offset:3072
	v_mad_u64_u32 v[4:5], s[14:15], s0, v6, v[4:5]
	v_add_u32_e32 v5, s2, v5
	s_waitcnt vmcnt(0)
	v_mul_f64 v[8:9], v[2:3], v[12:13]
	v_fmac_f64_e32 v[8:9], v[0:1], v[10:11]
	v_mul_f64 v[0:1], v[0:1], v[12:13]
	scratch_store_dwordx4 off, v[10:13], off offset:108 ; 16-byte Folded Spill
	s_nop 1
	v_fma_f64 v[10:11], v[2:3], v[10:11], -v[0:1]
	ds_write_b128 v228, v[8:11] offset:3072
	global_load_dwordx4 v[0:3], v[4:5], off
	global_load_dwordx4 v[10:13], v14, s[8:9] offset:3840
	v_mad_u64_u32 v[4:5], s[14:15], s0, v6, v[4:5]
	v_add_u32_e32 v5, s2, v5
	scratch_store_dword off, v7, off offset:24 ; 4-byte Folded Spill
	s_waitcnt vmcnt(1)
	v_mul_f64 v[8:9], v[2:3], v[12:13]
	v_fmac_f64_e32 v[8:9], v[0:1], v[10:11]
	v_mul_f64 v[0:1], v[0:1], v[12:13]
	scratch_store_dwordx4 off, v[10:13], off offset:88 ; 16-byte Folded Spill
	s_nop 1
	v_fma_f64 v[10:11], v[2:3], v[10:11], -v[0:1]
	ds_write_b128 v228, v[8:11] offset:3840
	global_load_dwordx4 v[0:3], v[4:5], off
	global_load_dwordx4 v[10:13], v7, s[8:9]
	v_or_b32_e32 v7, 0x150, v158
	v_mad_u64_u32 v[4:5], s[14:15], s0, v6, v[4:5]
	v_add_u32_e32 v5, s2, v5
	v_lshlrev_b32_e32 v7, 4, v7
	scratch_store_dword off, v7, off offset:28 ; 4-byte Folded Spill
	s_waitcnt vmcnt(1)
	v_mul_f64 v[8:9], v[2:3], v[12:13]
	v_fmac_f64_e32 v[8:9], v[0:1], v[10:11]
	v_mul_f64 v[0:1], v[0:1], v[12:13]
	v_accvgpr_write_b32 a27, v13
	v_accvgpr_write_b32 a26, v12
	v_accvgpr_write_b32 a25, v11
	v_accvgpr_write_b32 a24, v10
	v_fma_f64 v[10:11], v[2:3], v[10:11], -v[0:1]
	ds_write_b128 v228, v[8:11] offset:4608
	global_load_dwordx4 v[0:3], v[4:5], off
	global_load_dwordx4 v[10:13], v7, s[8:9]
	v_or_b32_e32 v7, 0x180, v158
	v_mad_u64_u32 v[4:5], s[14:15], s0, v6, v[4:5]
	v_add_u32_e32 v5, s2, v5
	v_lshlrev_b32_e32 v7, 4, v7
	scratch_store_dword off, v7, off offset:32 ; 4-byte Folded Spill
	s_waitcnt vmcnt(1)
	v_mul_f64 v[8:9], v[2:3], v[12:13]
	v_fmac_f64_e32 v[8:9], v[0:1], v[10:11]
	v_mul_f64 v[0:1], v[0:1], v[12:13]
	v_accvgpr_write_b32 a23, v13
	v_accvgpr_write_b32 a22, v12
	v_accvgpr_write_b32 a21, v11
	v_accvgpr_write_b32 a20, v10
	;; [unrolled: 17-line block ×3, first 2 shown]
	v_fma_f64 v[10:11], v[2:3], v[10:11], -v[0:1]
	ds_write_b128 v228, v[8:11] offset:6144
	global_load_dwordx4 v[0:3], v[4:5], off
	global_load_dwordx4 v[10:13], v7, s[8:9]
	v_mov_b32_e32 v7, 0xffffe600
	v_mad_u64_u32 v[4:5], s[14:15], s0, v7, v[4:5]
	v_add_u32_e32 v5, s1, v5
	s_waitcnt vmcnt(0)
	v_mul_f64 v[8:9], v[2:3], v[12:13]
	v_fmac_f64_e32 v[8:9], v[0:1], v[10:11]
	v_mul_f64 v[0:1], v[0:1], v[12:13]
	v_accvgpr_write_b32 a33, v13
	v_accvgpr_write_b32 a32, v12
	v_accvgpr_write_b32 a31, v11
	v_accvgpr_write_b32 a30, v10
	v_fma_f64 v[10:11], v[2:3], v[10:11], -v[0:1]
	ds_write_b128 v228, v[8:11] offset:6912
	global_load_dwordx4 v[0:3], v[4:5], off
	global_load_dwordx4 v[10:13], v14, s[8:9] offset:256
	v_mad_u64_u32 v[4:5], s[14:15], s0, v6, v[4:5]
	v_add_u32_e32 v5, s2, v5
	s_waitcnt vmcnt(0)
	v_mul_f64 v[8:9], v[2:3], v[12:13]
	v_fmac_f64_e32 v[8:9], v[0:1], v[10:11]
	v_mul_f64 v[0:1], v[0:1], v[12:13]
	v_accvgpr_write_b32 a41, v13
	v_accvgpr_write_b32 a40, v12
	v_accvgpr_write_b32 a39, v11
	v_accvgpr_write_b32 a38, v10
	v_fma_f64 v[10:11], v[2:3], v[10:11], -v[0:1]
	ds_write_b128 v228, v[8:11] offset:256
	global_load_dwordx4 v[0:3], v[4:5], off
	global_load_dwordx4 v[10:13], v14, s[8:9] offset:1024
	;; [unrolled: 14-line block ×5, first 2 shown]
	v_mad_u64_u32 v[4:5], s[14:15], s0, v6, v[4:5]
	v_add_u32_e32 v5, s2, v5
	s_waitcnt vmcnt(0)
	v_mul_f64 v[8:9], v[2:3], v[12:13]
	v_fmac_f64_e32 v[8:9], v[0:1], v[10:11]
	v_mul_f64 v[0:1], v[0:1], v[12:13]
	v_accvgpr_write_b32 a65, v13
	v_accvgpr_write_b32 a64, v12
	v_accvgpr_write_b32 a63, v11
	v_accvgpr_write_b32 a62, v10
	v_fma_f64 v[10:11], v[2:3], v[10:11], -v[0:1]
	ds_write_b128 v228, v[8:11] offset:3328
	v_or_b32_e32 v8, 0x100, v158
	v_lshlrev_b32_e32 v8, 4, v8
	global_load_dwordx4 v[0:3], v[4:5], off
	global_load_dwordx4 v[10:13], v8, s[8:9]
	v_mad_u64_u32 v[4:5], s[14:15], s0, v6, v[4:5]
	scratch_store_dword off, v8, off offset:4 ; 4-byte Folded Spill
	v_add_u32_e32 v5, s2, v5
	s_waitcnt vmcnt(1)
	v_mul_f64 v[8:9], v[2:3], v[12:13]
	v_fmac_f64_e32 v[8:9], v[0:1], v[10:11]
	v_mul_f64 v[0:1], v[0:1], v[12:13]
	v_accvgpr_write_b32 a69, v13
	v_accvgpr_write_b32 a68, v12
	v_accvgpr_write_b32 a67, v11
	v_accvgpr_write_b32 a66, v10
	v_fma_f64 v[10:11], v[2:3], v[10:11], -v[0:1]
	ds_write_b128 v228, v[8:11] offset:4096
	v_or_b32_e32 v8, 0x130, v158
	v_lshlrev_b32_e32 v8, 4, v8
	global_load_dwordx4 v[0:3], v[4:5], off
	global_load_dwordx4 v[10:13], v8, s[8:9]
	v_mad_u64_u32 v[4:5], s[14:15], s0, v6, v[4:5]
	scratch_store_dword off, v8, off offset:12 ; 4-byte Folded Spill
	;; [unrolled: 17-line block ×3, first 2 shown]
	v_add_u32_e32 v5, s2, v5
	s_waitcnt vmcnt(1)
	v_mul_f64 v[8:9], v[2:3], v[12:13]
	v_fmac_f64_e32 v[8:9], v[0:1], v[10:11]
	v_mul_f64 v[0:1], v[0:1], v[12:13]
	v_accvgpr_write_b32 a77, v13
	v_accvgpr_write_b32 a76, v12
	;; [unrolled: 1-line block ×4, first 2 shown]
	v_fma_f64 v[10:11], v[2:3], v[10:11], -v[0:1]
	ds_write_b128 v228, v[8:11] offset:5632
	v_or_b32_e32 v8, 0x190, v158
	v_lshlrev_b32_e32 v8, 4, v8
	global_load_dwordx4 v[0:3], v[4:5], off
	global_load_dwordx4 v[10:13], v8, s[8:9]
	v_mad_u64_u32 v[4:5], s[14:15], s0, v6, v[4:5]
	scratch_store_dword off, v8, off        ; 4-byte Folded Spill
	v_add_u32_e32 v5, s2, v5
	s_waitcnt vmcnt(1)
	v_mul_f64 v[8:9], v[2:3], v[12:13]
	v_fmac_f64_e32 v[8:9], v[0:1], v[10:11]
	v_mul_f64 v[0:1], v[0:1], v[12:13]
	v_accvgpr_write_b32 a81, v13
	v_accvgpr_write_b32 a80, v12
	;; [unrolled: 1-line block ×4, first 2 shown]
	v_fma_f64 v[10:11], v[2:3], v[10:11], -v[0:1]
	ds_write_b128 v228, v[8:11] offset:6400
	v_or_b32_e32 v8, 0x1c0, v158
	v_lshlrev_b32_e32 v8, 4, v8
	global_load_dwordx4 v[0:3], v[4:5], off
	global_load_dwordx4 v[10:13], v8, s[8:9]
	v_mad_u64_u32 v[4:5], s[14:15], s0, v7, v[4:5]
	scratch_store_dword off, v8, off offset:8 ; 4-byte Folded Spill
	v_add_u32_e32 v5, s1, v5
	v_or_b32_e32 v7, 0x110, v158
	v_lshlrev_b32_e32 v7, 4, v7
	s_waitcnt vmcnt(1)
	v_mul_f64 v[8:9], v[2:3], v[12:13]
	v_fmac_f64_e32 v[8:9], v[0:1], v[10:11]
	v_mul_f64 v[0:1], v[0:1], v[12:13]
	v_accvgpr_write_b32 a57, v13
	v_accvgpr_write_b32 a56, v12
	v_accvgpr_write_b32 a55, v11
	v_accvgpr_write_b32 a54, v10
	v_fma_f64 v[10:11], v[2:3], v[10:11], -v[0:1]
	ds_write_b128 v228, v[8:11] offset:7168
	global_load_dwordx4 v[0:3], v[4:5], off
	global_load_dwordx4 v[10:13], v14, s[8:9] offset:512
	v_mad_u64_u32 v[4:5], s[14:15], s0, v6, v[4:5]
	v_add_u32_e32 v5, s2, v5
	s_waitcnt vmcnt(0)
	v_mul_f64 v[8:9], v[2:3], v[12:13]
	v_fmac_f64_e32 v[8:9], v[0:1], v[10:11]
	v_mul_f64 v[0:1], v[0:1], v[12:13]
	v_accvgpr_write_b32 a87, v13
	v_accvgpr_write_b32 a86, v12
	v_accvgpr_write_b32 a85, v11
	v_accvgpr_write_b32 a84, v10
	v_fma_f64 v[10:11], v[2:3], v[10:11], -v[0:1]
	ds_write_b128 v228, v[8:11] offset:512
	global_load_dwordx4 v[0:3], v[4:5], off
	global_load_dwordx4 v[10:13], v14, s[8:9] offset:1280
	v_mad_u64_u32 v[4:5], s[14:15], s0, v6, v[4:5]
	v_add_u32_e32 v5, s2, v5
	;; [unrolled: 14-line block ×3, first 2 shown]
	s_waitcnt vmcnt(0)
	v_mul_f64 v[8:9], v[2:3], v[12:13]
	v_fmac_f64_e32 v[8:9], v[0:1], v[10:11]
	v_mul_f64 v[0:1], v[0:1], v[12:13]
	v_accvgpr_write_b32 a95, v13
	v_accvgpr_write_b32 a94, v12
	;; [unrolled: 1-line block ×4, first 2 shown]
	v_fma_f64 v[10:11], v[2:3], v[10:11], -v[0:1]
	ds_write_b128 v228, v[8:11] offset:2048
	global_load_dwordx4 v[0:3], v[4:5], off
	global_load_dwordx4 v[10:13], v14, s[8:9] offset:2816
	s_waitcnt vmcnt(0)
	v_mul_f64 v[8:9], v[2:3], v[12:13]
	v_fmac_f64_e32 v[8:9], v[0:1], v[10:11]
	v_mul_f64 v[0:1], v[0:1], v[12:13]
	v_accvgpr_write_b32 a99, v13
	v_accvgpr_write_b32 a98, v12
	;; [unrolled: 1-line block ×4, first 2 shown]
	v_fma_f64 v[10:11], v[2:3], v[10:11], -v[0:1]
	v_mad_u64_u32 v[0:1], s[14:15], s0, v6, v[4:5]
	v_add_u32_e32 v1, s2, v1
	ds_write_b128 v228, v[8:11] offset:2816
	global_load_dwordx4 v[2:5], v[0:1], off
	global_load_dwordx4 v[10:13], v14, s[8:9] offset:3584
	s_waitcnt vmcnt(0)
	v_mul_f64 v[8:9], v[4:5], v[12:13]
	v_fmac_f64_e32 v[8:9], v[2:3], v[10:11]
	v_mul_f64 v[2:3], v[2:3], v[12:13]
	v_accvgpr_write_b32 a103, v13
	v_accvgpr_write_b32 a102, v12
	;; [unrolled: 1-line block ×4, first 2 shown]
	v_fma_f64 v[10:11], v[4:5], v[10:11], -v[2:3]
	v_mad_u64_u32 v[4:5], s[14:15], s0, v6, v[0:1]
	v_add_u32_e32 v5, s2, v5
	ds_write_b128 v228, v[8:11] offset:3584
	global_load_dwordx4 v[0:3], v[4:5], off
	global_load_dwordx4 v[10:13], v7, s[8:9]
	v_mad_u64_u32 v[4:5], s[14:15], s0, v6, v[4:5]
	scratch_store_dword off, v7, off offset:104 ; 4-byte Folded Spill
	v_or_b32_e32 v7, 0x140, v158
	v_add_u32_e32 v5, s2, v5
	v_lshlrev_b32_e32 v7, 4, v7
	scratch_store_dword off, v7, off offset:124 ; 4-byte Folded Spill
	s_waitcnt vmcnt(2)
	v_mul_f64 v[8:9], v[2:3], v[12:13]
	v_fmac_f64_e32 v[8:9], v[0:1], v[10:11]
	v_mul_f64 v[0:1], v[0:1], v[12:13]
	v_accvgpr_write_b32 a107, v13
	v_accvgpr_write_b32 a106, v12
	;; [unrolled: 1-line block ×4, first 2 shown]
	v_fma_f64 v[10:11], v[2:3], v[10:11], -v[0:1]
	ds_write_b128 v228, v[8:11] offset:4352
	global_load_dwordx4 v[0:3], v[4:5], off
	global_load_dwordx4 v[10:13], v7, s[8:9]
	v_or_b32_e32 v7, 0x170, v158
	v_mad_u64_u32 v[4:5], s[14:15], s0, v6, v[4:5]
	v_add_u32_e32 v5, s2, v5
	v_lshlrev_b32_e32 v7, 4, v7
	v_accvgpr_write_b32 a125, v7
	s_waitcnt vmcnt(0)
	v_mul_f64 v[8:9], v[2:3], v[12:13]
	v_fmac_f64_e32 v[8:9], v[0:1], v[10:11]
	v_mul_f64 v[0:1], v[0:1], v[12:13]
	v_accvgpr_write_b32 a111, v13
	v_accvgpr_write_b32 a110, v12
	;; [unrolled: 1-line block ×4, first 2 shown]
	v_fma_f64 v[10:11], v[2:3], v[10:11], -v[0:1]
	ds_write_b128 v228, v[8:11] offset:5120
	global_load_dwordx4 v[0:3], v[4:5], off
	global_load_dwordx4 v[10:13], v7, s[8:9]
	v_or_b32_e32 v7, 0x1a0, v158
	v_mad_u64_u32 v[4:5], s[14:15], s0, v6, v[4:5]
	v_add_u32_e32 v5, s2, v5
	v_lshlrev_b32_e32 v7, 4, v7
	scratch_store_dword off, v7, off offset:36 ; 4-byte Folded Spill
	s_mov_b32 s15, 0xbfee6f0e
	s_mov_b32 s14, s16
	s_waitcnt vmcnt(1)
	v_mul_f64 v[8:9], v[2:3], v[12:13]
	v_fmac_f64_e32 v[8:9], v[0:1], v[10:11]
	v_mul_f64 v[0:1], v[0:1], v[12:13]
	v_accvgpr_write_b32 a115, v13
	v_accvgpr_write_b32 a114, v12
	;; [unrolled: 1-line block ×4, first 2 shown]
	v_fma_f64 v[10:11], v[2:3], v[10:11], -v[0:1]
	ds_write_b128 v228, v[8:11] offset:5888
	global_load_dwordx4 v[0:3], v[4:5], off
	global_load_dwordx4 v[10:13], v7, s[8:9]
	v_or_b32_e32 v7, 0x1d0, v158
	s_waitcnt vmcnt(0)
	v_mul_f64 v[8:9], v[2:3], v[12:13]
	v_fmac_f64_e32 v[8:9], v[0:1], v[10:11]
	v_mul_f64 v[0:1], v[0:1], v[12:13]
	v_accvgpr_write_b32 a119, v13
	v_accvgpr_write_b32 a118, v12
	;; [unrolled: 1-line block ×4, first 2 shown]
	v_fma_f64 v[10:11], v[2:3], v[10:11], -v[0:1]
	v_mad_u64_u32 v[0:1], s[0:1], s0, v6, v[4:5]
	v_add_u32_e32 v1, s2, v1
	v_lshlrev_b32_e32 v4, 4, v7
	ds_write_b128 v228, v[8:11] offset:6656
	global_load_dwordx4 v[0:3], v[0:1], off
	v_accvgpr_write_b32 a138, v4
	global_load_dwordx4 v[6:9], v4, s[8:9]
	s_mov_b32 s2, 0x372fe950
	s_mov_b32 s1, 0xbfe2cf23
	;; [unrolled: 1-line block ×4, first 2 shown]
	s_waitcnt vmcnt(0)
	v_mul_f64 v[4:5], v[2:3], v[8:9]
	v_fmac_f64_e32 v[4:5], v[0:1], v[6:7]
	v_mul_f64 v[0:1], v[0:1], v[8:9]
	v_accvgpr_write_b32 a123, v9
	v_accvgpr_write_b32 a122, v8
	;; [unrolled: 1-line block ×4, first 2 shown]
	v_fma_f64 v[6:7], v[2:3], v[6:7], -v[0:1]
	ds_write_b128 v228, v[4:7] offset:7424
	s_waitcnt lgkmcnt(0)
	; wave barrier
	s_waitcnt lgkmcnt(0)
	ds_read_b128 v[36:39], v208
	ds_read_b128 v[22:25], v228 offset:768
	ds_read_b128 v[26:29], v228 offset:1536
	;; [unrolled: 1-line block ×29, first 2 shown]
	s_waitcnt lgkmcnt(14)
	v_add_f64 v[20:21], v[36:37], v[26:27]
	v_add_f64 v[20:21], v[20:21], v[30:31]
	;; [unrolled: 1-line block ×5, first 2 shown]
	v_fma_f64 v[34:35], -0.5, v[20:21], v[36:37]
	v_add_f64 v[20:21], v[28:29], -v[98:99]
	v_fma_f64 v[102:103], s[16:17], v[20:21], v[34:35]
	v_add_f64 v[104:105], v[32:33], -v[42:43]
	v_add_f64 v[106:107], v[26:27], -v[30:31]
	v_add_f64 v[110:111], v[96:97], -v[40:41]
	v_fmac_f64_e32 v[34:35], s[14:15], v[20:21]
	v_fmac_f64_e32 v[102:103], s[18:19], v[104:105]
	v_add_f64 v[106:107], v[106:107], v[110:111]
	v_fmac_f64_e32 v[34:35], s[0:1], v[104:105]
	v_fmac_f64_e32 v[102:103], s[2:3], v[106:107]
	v_fmac_f64_e32 v[34:35], s[2:3], v[106:107]
	v_add_f64 v[106:107], v[26:27], v[96:97]
	v_fmac_f64_e32 v[36:37], -0.5, v[106:107]
	v_fma_f64 v[110:111], s[14:15], v[104:105], v[36:37]
	v_fmac_f64_e32 v[36:37], s[16:17], v[104:105]
	v_fmac_f64_e32 v[110:111], s[18:19], v[20:21]
	v_fmac_f64_e32 v[36:37], s[0:1], v[20:21]
	v_add_f64 v[20:21], v[38:39], v[28:29]
	v_add_f64 v[106:107], v[30:31], -v[26:27]
	v_add_f64 v[112:113], v[40:41], -v[96:97]
	v_add_f64 v[20:21], v[20:21], v[32:33]
	v_add_f64 v[106:107], v[106:107], v[112:113]
	v_add_f64 v[20:21], v[20:21], v[42:43]
	v_fmac_f64_e32 v[110:111], s[2:3], v[106:107]
	v_fmac_f64_e32 v[36:37], s[2:3], v[106:107]
	v_add_f64 v[106:107], v[20:21], v[98:99]
	v_add_f64 v[20:21], v[32:33], v[42:43]
	v_fma_f64 v[104:105], -0.5, v[20:21], v[38:39]
	v_add_f64 v[20:21], v[26:27], -v[96:97]
	v_fma_f64 v[26:27], s[14:15], v[20:21], v[104:105]
	v_add_f64 v[30:31], v[30:31], -v[40:41]
	v_add_f64 v[40:41], v[28:29], -v[32:33]
	v_add_f64 v[96:97], v[98:99], -v[42:43]
	v_fmac_f64_e32 v[104:105], s[16:17], v[20:21]
	v_fmac_f64_e32 v[26:27], s[0:1], v[30:31]
	v_add_f64 v[40:41], v[40:41], v[96:97]
	v_fmac_f64_e32 v[104:105], s[18:19], v[30:31]
	v_fmac_f64_e32 v[26:27], s[2:3], v[40:41]
	v_fmac_f64_e32 v[104:105], s[2:3], v[40:41]
	v_add_f64 v[40:41], v[28:29], v[98:99]
	v_fmac_f64_e32 v[38:39], -0.5, v[40:41]
	v_fma_f64 v[96:97], s[16:17], v[30:31], v[38:39]
	v_fmac_f64_e32 v[38:39], s[14:15], v[30:31]
	v_fmac_f64_e32 v[96:97], s[0:1], v[20:21]
	v_fmac_f64_e32 v[38:39], s[18:19], v[20:21]
	v_add_f64 v[20:21], v[22:23], v[4:5]
	v_add_f64 v[28:29], v[32:33], -v[28:29]
	v_add_f64 v[32:33], v[42:43], -v[98:99]
	v_add_f64 v[20:21], v[20:21], v[8:9]
	v_add_f64 v[28:29], v[28:29], v[32:33]
	v_add_f64 v[20:21], v[20:21], v[12:13]
	v_fmac_f64_e32 v[96:97], s[2:3], v[28:29]
	v_fmac_f64_e32 v[38:39], s[2:3], v[28:29]
	v_add_f64 v[28:29], v[20:21], v[16:17]
	v_add_f64 v[20:21], v[8:9], v[12:13]
	;; [unrolled: 28-line block ×3, first 2 shown]
	v_fma_f64 v[40:41], -0.5, v[20:21], v[24:25]
	v_add_f64 v[4:5], v[4:5], -v[16:17]
	v_fma_f64 v[112:113], s[14:15], v[4:5], v[40:41]
	v_add_f64 v[8:9], v[8:9], -v[12:13]
	v_add_f64 v[12:13], v[6:7], -v[10:11]
	;; [unrolled: 1-line block ×3, first 2 shown]
	v_fmac_f64_e32 v[40:41], s[16:17], v[4:5]
	v_fmac_f64_e32 v[112:113], s[0:1], v[8:9]
	v_add_f64 v[12:13], v[12:13], v[16:17]
	v_fmac_f64_e32 v[40:41], s[18:19], v[8:9]
	v_fmac_f64_e32 v[112:113], s[2:3], v[12:13]
	;; [unrolled: 1-line block ×3, first 2 shown]
	v_add_f64 v[12:13], v[6:7], v[18:19]
	v_fmac_f64_e32 v[24:25], -0.5, v[12:13]
	v_fma_f64 v[116:117], s[16:17], v[8:9], v[24:25]
	v_add_f64 v[6:7], v[10:11], -v[6:7]
	v_add_f64 v[10:11], v[14:15], -v[18:19]
	v_fmac_f64_e32 v[116:117], s[0:1], v[4:5]
	v_add_f64 v[6:7], v[6:7], v[10:11]
	v_fmac_f64_e32 v[24:25], s[14:15], v[8:9]
	v_fmac_f64_e32 v[116:117], s[2:3], v[6:7]
	;; [unrolled: 1-line block ×4, first 2 shown]
	v_mul_f64 v[128:129], v[116:117], s[16:17]
	v_mul_f64 v[118:119], v[32:33], s[20:21]
	v_fmac_f64_e32 v[128:129], s[2:3], v[98:99]
	v_mul_f64 v[6:7], v[22:23], s[2:3]
	v_mul_f64 v[134:135], v[32:33], s[0:1]
	;; [unrolled: 1-line block ×4, first 2 shown]
	v_fmac_f64_e32 v[118:119], s[18:19], v[112:113]
	v_fma_f64 v[130:131], v[24:25], s[16:17], -v[6:7]
	v_mul_f64 v[6:7], v[30:31], s[20:21]
	v_fmac_f64_e32 v[134:135], s[20:21], v[112:113]
	v_fmac_f64_e32 v[98:99], s[2:3], v[116:117]
	v_fma_f64 v[112:113], v[22:23], s[14:15], -v[18:19]
	v_mul_f64 v[18:19], v[40:41], s[20:21]
	v_fma_f64 v[132:133], v[40:41], s[18:19], -v[6:7]
	v_add_f64 v[10:11], v[26:27], v[134:135]
	v_add_f64 v[6:7], v[96:97], v[98:99]
	v_fma_f64 v[116:117], v[30:31], s[0:1], -v[18:19]
	v_add_f64 v[30:31], v[26:27], -v[134:135]
	v_add_f64 v[26:27], v[96:97], -v[98:99]
	v_add_f64 v[96:97], v[120:121], v[80:81]
	v_add_f64 v[96:97], v[96:97], v[84:85]
	s_waitcnt lgkmcnt(13)
	v_add_f64 v[96:97], v[96:97], v[88:89]
	v_add_f64 v[12:13], v[100:101], v[28:29]
	;; [unrolled: 1-line block ×3, first 2 shown]
	v_add_f64 v[32:33], v[100:101], -v[28:29]
	v_add_f64 v[28:29], v[102:103], -v[118:119]
	s_waitcnt lgkmcnt(11)
	v_add_f64 v[102:103], v[96:97], v[92:93]
	v_add_f64 v[96:97], v[84:85], v[88:89]
	v_fma_f64 v[96:97], -0.5, v[96:97], v[120:121]
	v_add_f64 v[98:99], v[82:83], -v[94:95]
	v_add_f64 v[4:5], v[110:111], v[128:129]
	v_add_f64 v[20:21], v[36:37], v[130:131]
	;; [unrolled: 1-line block ×6, first 2 shown]
	v_add_f64 v[24:25], v[110:111], -v[128:129]
	v_add_f64 v[40:41], v[36:37], -v[130:131]
	;; [unrolled: 1-line block ×6, first 2 shown]
	v_fma_f64 v[104:105], s[16:17], v[98:99], v[96:97]
	v_add_f64 v[100:101], v[86:87], -v[90:91]
	v_add_f64 v[106:107], v[80:81], -v[84:85]
	;; [unrolled: 1-line block ×3, first 2 shown]
	v_fmac_f64_e32 v[96:97], s[14:15], v[98:99]
	v_fmac_f64_e32 v[104:105], s[18:19], v[100:101]
	v_add_f64 v[106:107], v[106:107], v[110:111]
	v_fmac_f64_e32 v[96:97], s[0:1], v[100:101]
	v_fmac_f64_e32 v[104:105], s[2:3], v[106:107]
	;; [unrolled: 1-line block ×3, first 2 shown]
	v_add_f64 v[106:107], v[80:81], v[92:93]
	v_fmac_f64_e32 v[120:121], -0.5, v[106:107]
	v_fma_f64 v[106:107], s[14:15], v[100:101], v[120:121]
	v_fmac_f64_e32 v[120:121], s[16:17], v[100:101]
	v_fmac_f64_e32 v[106:107], s[18:19], v[98:99]
	;; [unrolled: 1-line block ×3, first 2 shown]
	v_add_f64 v[98:99], v[122:123], v[82:83]
	v_add_f64 v[98:99], v[98:99], v[86:87]
	;; [unrolled: 1-line block ×3, first 2 shown]
	v_add_f64 v[110:111], v[84:85], -v[80:81]
	v_add_f64 v[112:113], v[88:89], -v[92:93]
	v_add_f64 v[100:101], v[98:99], v[94:95]
	v_add_f64 v[98:99], v[86:87], v[90:91]
	v_add_f64 v[110:111], v[110:111], v[112:113]
	v_fma_f64 v[98:99], -0.5, v[98:99], v[122:123]
	v_add_f64 v[80:81], v[80:81], -v[92:93]
	v_fmac_f64_e32 v[106:107], s[2:3], v[110:111]
	v_fmac_f64_e32 v[120:121], s[2:3], v[110:111]
	v_fma_f64 v[92:93], s[14:15], v[80:81], v[98:99]
	v_add_f64 v[88:89], v[84:85], -v[88:89]
	v_add_f64 v[84:85], v[82:83], -v[86:87]
	;; [unrolled: 1-line block ×3, first 2 shown]
	v_fmac_f64_e32 v[98:99], s[16:17], v[80:81]
	v_fmac_f64_e32 v[92:93], s[0:1], v[88:89]
	v_add_f64 v[84:85], v[84:85], v[110:111]
	v_fmac_f64_e32 v[98:99], s[18:19], v[88:89]
	v_fmac_f64_e32 v[92:93], s[2:3], v[84:85]
	;; [unrolled: 1-line block ×3, first 2 shown]
	v_add_f64 v[84:85], v[82:83], v[94:95]
	v_fmac_f64_e32 v[122:123], -0.5, v[84:85]
	v_fma_f64 v[84:85], s[16:17], v[88:89], v[122:123]
	v_fmac_f64_e32 v[122:123], s[14:15], v[88:89]
	v_fmac_f64_e32 v[84:85], s[0:1], v[80:81]
	v_fmac_f64_e32 v[122:123], s[18:19], v[80:81]
	v_add_f64 v[80:81], v[124:125], v[64:65]
	v_add_f64 v[80:81], v[80:81], v[68:69]
	v_add_f64 v[82:83], v[86:87], -v[82:83]
	v_add_f64 v[86:87], v[90:91], -v[94:95]
	v_add_f64 v[80:81], v[80:81], v[72:73]
	v_add_f64 v[82:83], v[82:83], v[86:87]
	s_waitcnt lgkmcnt(10)
	v_add_f64 v[86:87], v[80:81], v[76:77]
	v_add_f64 v[80:81], v[68:69], v[72:73]
	v_fma_f64 v[88:89], -0.5, v[80:81], v[124:125]
	v_add_f64 v[80:81], v[66:67], -v[78:79]
	v_fmac_f64_e32 v[84:85], s[2:3], v[82:83]
	v_fmac_f64_e32 v[122:123], s[2:3], v[82:83]
	v_fma_f64 v[82:83], s[16:17], v[80:81], v[88:89]
	v_add_f64 v[90:91], v[70:71], -v[74:75]
	v_add_f64 v[94:95], v[64:65], -v[68:69]
	;; [unrolled: 1-line block ×3, first 2 shown]
	v_fmac_f64_e32 v[88:89], s[14:15], v[80:81]
	v_fmac_f64_e32 v[82:83], s[18:19], v[90:91]
	v_add_f64 v[94:95], v[94:95], v[110:111]
	v_fmac_f64_e32 v[88:89], s[0:1], v[90:91]
	v_fmac_f64_e32 v[82:83], s[2:3], v[94:95]
	;; [unrolled: 1-line block ×3, first 2 shown]
	v_add_f64 v[94:95], v[64:65], v[76:77]
	v_fmac_f64_e32 v[124:125], -0.5, v[94:95]
	v_fma_f64 v[110:111], s[14:15], v[90:91], v[124:125]
	v_fmac_f64_e32 v[124:125], s[16:17], v[90:91]
	v_fmac_f64_e32 v[110:111], s[18:19], v[80:81]
	;; [unrolled: 1-line block ×3, first 2 shown]
	v_add_f64 v[80:81], v[126:127], v[66:67]
	v_add_f64 v[80:81], v[80:81], v[70:71]
	v_add_f64 v[94:95], v[68:69], -v[64:65]
	v_add_f64 v[112:113], v[72:73], -v[76:77]
	v_add_f64 v[80:81], v[80:81], v[74:75]
	v_add_f64 v[94:95], v[94:95], v[112:113]
	;; [unrolled: 1-line block ×4, first 2 shown]
	v_fmac_f64_e32 v[110:111], s[2:3], v[94:95]
	v_fmac_f64_e32 v[124:125], s[2:3], v[94:95]
	v_fma_f64 v[94:95], -0.5, v[80:81], v[126:127]
	v_add_f64 v[64:65], v[64:65], -v[76:77]
	v_fma_f64 v[112:113], s[14:15], v[64:65], v[94:95]
	v_add_f64 v[68:69], v[68:69], -v[72:73]
	v_add_f64 v[72:73], v[66:67], -v[70:71]
	;; [unrolled: 1-line block ×3, first 2 shown]
	v_fmac_f64_e32 v[94:95], s[16:17], v[64:65]
	v_fmac_f64_e32 v[112:113], s[0:1], v[68:69]
	v_add_f64 v[72:73], v[72:73], v[76:77]
	v_fmac_f64_e32 v[94:95], s[18:19], v[68:69]
	v_fmac_f64_e32 v[112:113], s[2:3], v[72:73]
	;; [unrolled: 1-line block ×3, first 2 shown]
	v_add_f64 v[72:73], v[66:67], v[78:79]
	v_fmac_f64_e32 v[126:127], -0.5, v[72:73]
	v_fma_f64 v[116:117], s[16:17], v[68:69], v[126:127]
	v_add_f64 v[66:67], v[70:71], -v[66:67]
	v_add_f64 v[70:71], v[74:75], -v[78:79]
	v_fmac_f64_e32 v[116:117], s[0:1], v[64:65]
	v_add_f64 v[66:67], v[66:67], v[70:71]
	v_fmac_f64_e32 v[116:117], s[2:3], v[66:67]
	v_fmac_f64_e32 v[126:127], s[14:15], v[68:69]
	;; [unrolled: 1-line block ×3, first 2 shown]
	v_mul_f64 v[130:131], v[116:117], s[16:17]
	v_fmac_f64_e32 v[126:127], s[2:3], v[66:67]
	v_fmac_f64_e32 v[130:131], s[2:3], v[110:111]
	v_mul_f64 v[66:67], v[124:125], s[2:3]
	v_mul_f64 v[110:111], v[110:111], s[14:15]
	v_fma_f64 v[134:135], v[126:127], s[16:17], -v[66:67]
	v_mul_f64 v[66:67], v[88:89], s[20:21]
	v_fmac_f64_e32 v[110:111], s[2:3], v[116:117]
	v_mul_f64 v[118:119], v[82:83], s[20:21]
	v_fma_f64 v[138:139], v[94:95], s[18:19], -v[66:67]
	v_mul_f64 v[156:157], v[82:83], s[0:1]
	v_add_f64 v[66:67], v[84:85], v[110:111]
	v_mul_f64 v[78:79], v[126:127], s[2:3]
	v_add_f64 v[126:127], v[84:85], -v[110:111]
	s_waitcnt lgkmcnt(7)
	v_add_f64 v[84:85], v[44:45], v[140:141]
	v_fmac_f64_e32 v[118:119], s[18:19], v[112:113]
	v_fmac_f64_e32 v[156:157], s[20:21], v[112:113]
	v_fma_f64 v[112:113], v[124:125], s[14:15], -v[78:79]
	v_mul_f64 v[78:79], v[94:95], s[20:21]
	s_waitcnt lgkmcnt(5)
	v_add_f64 v[84:85], v[84:85], v[144:145]
	v_fma_f64 v[88:89], v[88:89], s[0:1], -v[78:79]
	s_waitcnt lgkmcnt(3)
	v_add_f64 v[84:85], v[84:85], v[148:149]
	v_add_f64 v[80:81], v[120:121], v[134:135]
	;; [unrolled: 1-line block ×5, first 2 shown]
	v_add_f64 v[136:137], v[120:121], -v[134:135]
	v_add_f64 v[120:121], v[96:97], -v[138:139]
	;; [unrolled: 1-line block ×4, first 2 shown]
	s_waitcnt lgkmcnt(1)
	v_add_f64 v[98:99], v[84:85], v[152:153]
	v_add_f64 v[84:85], v[144:145], v[148:149]
	;; [unrolled: 1-line block ×4, first 2 shown]
	v_add_f64 v[124:125], v[106:107], -v[130:131]
	v_add_f64 v[130:131], v[92:93], -v[156:157]
	v_fma_f64 v[92:93], -0.5, v[84:85], v[44:45]
	v_add_f64 v[84:85], v[142:143], -v[154:155]
	v_add_f64 v[72:73], v[102:103], v[86:87]
	v_add_f64 v[74:75], v[100:101], v[90:91]
	v_add_f64 v[132:133], v[102:103], -v[86:87]
	v_add_f64 v[134:135], v[100:101], -v[90:91]
	v_fma_f64 v[100:101], s[16:17], v[84:85], v[92:93]
	v_add_f64 v[86:87], v[146:147], -v[150:151]
	v_add_f64 v[88:89], v[140:141], -v[144:145]
	;; [unrolled: 1-line block ×3, first 2 shown]
	v_fmac_f64_e32 v[92:93], s[14:15], v[84:85]
	v_fmac_f64_e32 v[100:101], s[18:19], v[86:87]
	v_add_f64 v[88:89], v[88:89], v[90:91]
	v_fmac_f64_e32 v[92:93], s[0:1], v[86:87]
	v_fmac_f64_e32 v[100:101], s[2:3], v[88:89]
	;; [unrolled: 1-line block ×3, first 2 shown]
	v_add_f64 v[88:89], v[140:141], v[152:153]
	v_fmac_f64_e32 v[44:45], -0.5, v[88:89]
	v_add_f64 v[68:69], v[104:105], v[118:119]
	v_add_f64 v[128:129], v[104:105], -v[118:119]
	v_fma_f64 v[104:105], s[14:15], v[86:87], v[44:45]
	v_fmac_f64_e32 v[44:45], s[16:17], v[86:87]
	v_fmac_f64_e32 v[104:105], s[18:19], v[84:85]
	;; [unrolled: 1-line block ×3, first 2 shown]
	v_add_f64 v[84:85], v[46:47], v[142:143]
	v_add_f64 v[84:85], v[84:85], v[146:147]
	v_add_f64 v[88:89], v[144:145], -v[140:141]
	v_add_f64 v[90:91], v[148:149], -v[152:153]
	v_add_f64 v[84:85], v[84:85], v[150:151]
	v_add_f64 v[88:89], v[88:89], v[90:91]
	v_add_f64 v[94:95], v[84:85], v[154:155]
	v_add_f64 v[84:85], v[146:147], v[150:151]
	v_fmac_f64_e32 v[104:105], s[2:3], v[88:89]
	v_fmac_f64_e32 v[44:45], s[2:3], v[88:89]
	v_fma_f64 v[88:89], -0.5, v[84:85], v[46:47]
	v_add_f64 v[84:85], v[140:141], -v[152:153]
	v_fma_f64 v[96:97], s[14:15], v[84:85], v[88:89]
	v_add_f64 v[86:87], v[144:145], -v[148:149]
	v_add_f64 v[90:91], v[142:143], -v[146:147]
	;; [unrolled: 1-line block ×3, first 2 shown]
	v_fmac_f64_e32 v[88:89], s[16:17], v[84:85]
	v_fmac_f64_e32 v[96:97], s[0:1], v[86:87]
	v_add_f64 v[90:91], v[90:91], v[102:103]
	v_fmac_f64_e32 v[88:89], s[18:19], v[86:87]
	v_fmac_f64_e32 v[96:97], s[2:3], v[90:91]
	;; [unrolled: 1-line block ×3, first 2 shown]
	v_add_f64 v[90:91], v[142:143], v[154:155]
	v_fmac_f64_e32 v[46:47], -0.5, v[90:91]
	v_fma_f64 v[102:103], s[16:17], v[86:87], v[46:47]
	v_fmac_f64_e32 v[46:47], s[14:15], v[86:87]
	v_fmac_f64_e32 v[102:103], s[0:1], v[84:85]
	;; [unrolled: 1-line block ×3, first 2 shown]
	v_add_f64 v[84:85], v[48:49], v[0:1]
	v_add_f64 v[84:85], v[84:85], v[52:53]
	v_add_f64 v[90:91], v[146:147], -v[142:143]
	v_add_f64 v[106:107], v[150:151], -v[154:155]
	v_add_f64 v[84:85], v[84:85], v[56:57]
	v_add_f64 v[90:91], v[90:91], v[106:107]
	s_waitcnt lgkmcnt(0)
	v_add_f64 v[106:107], v[84:85], v[60:61]
	v_add_f64 v[84:85], v[52:53], v[56:57]
	v_fmac_f64_e32 v[102:103], s[2:3], v[90:91]
	v_fmac_f64_e32 v[46:47], s[2:3], v[90:91]
	v_fma_f64 v[90:91], -0.5, v[84:85], v[48:49]
	v_add_f64 v[84:85], v[2:3], -v[62:63]
	v_fma_f64 v[86:87], s[16:17], v[84:85], v[90:91]
	v_add_f64 v[110:111], v[54:55], -v[58:59]
	v_add_f64 v[112:113], v[0:1], -v[52:53]
	;; [unrolled: 1-line block ×3, first 2 shown]
	v_fmac_f64_e32 v[90:91], s[14:15], v[84:85]
	v_fmac_f64_e32 v[86:87], s[18:19], v[110:111]
	v_add_f64 v[112:113], v[112:113], v[116:117]
	v_fmac_f64_e32 v[90:91], s[0:1], v[110:111]
	v_fmac_f64_e32 v[86:87], s[2:3], v[112:113]
	;; [unrolled: 1-line block ×3, first 2 shown]
	v_add_f64 v[112:113], v[0:1], v[60:61]
	v_fmac_f64_e32 v[48:49], -0.5, v[112:113]
	v_fma_f64 v[116:117], s[14:15], v[110:111], v[48:49]
	v_fmac_f64_e32 v[48:49], s[16:17], v[110:111]
	v_fmac_f64_e32 v[116:117], s[18:19], v[84:85]
	;; [unrolled: 1-line block ×3, first 2 shown]
	v_add_f64 v[84:85], v[50:51], v[2:3]
	v_add_f64 v[84:85], v[84:85], v[54:55]
	v_add_f64 v[112:113], v[52:53], -v[0:1]
	v_add_f64 v[118:119], v[56:57], -v[60:61]
	v_add_f64 v[84:85], v[84:85], v[58:59]
	v_add_f64 v[112:113], v[112:113], v[118:119]
	;; [unrolled: 1-line block ×4, first 2 shown]
	v_fmac_f64_e32 v[116:117], s[2:3], v[112:113]
	v_fmac_f64_e32 v[48:49], s[2:3], v[112:113]
	v_fma_f64 v[112:113], -0.5, v[84:85], v[50:51]
	v_add_f64 v[0:1], v[0:1], -v[60:61]
	v_fma_f64 v[60:61], s[14:15], v[0:1], v[112:113]
	v_add_f64 v[52:53], v[52:53], -v[56:57]
	v_add_f64 v[56:57], v[2:3], -v[54:55]
	;; [unrolled: 1-line block ×3, first 2 shown]
	v_fmac_f64_e32 v[112:113], s[16:17], v[0:1]
	v_fmac_f64_e32 v[60:61], s[0:1], v[52:53]
	v_add_f64 v[56:57], v[56:57], v[84:85]
	v_fmac_f64_e32 v[112:113], s[18:19], v[52:53]
	v_fmac_f64_e32 v[60:61], s[2:3], v[56:57]
	;; [unrolled: 1-line block ×3, first 2 shown]
	v_add_f64 v[56:57], v[2:3], v[62:63]
	v_fmac_f64_e32 v[50:51], -0.5, v[56:57]
	v_fma_f64 v[56:57], s[16:17], v[52:53], v[50:51]
	v_add_f64 v[2:3], v[54:55], -v[2:3]
	v_add_f64 v[54:55], v[58:59], -v[62:63]
	v_fmac_f64_e32 v[50:51], s[14:15], v[52:53]
	v_add_f64 v[2:3], v[2:3], v[54:55]
	v_fmac_f64_e32 v[50:51], s[18:19], v[0:1]
	v_fmac_f64_e32 v[56:57], s[0:1], v[0:1]
	;; [unrolled: 1-line block ×4, first 2 shown]
	v_mul_f64 v[0:1], v[48:49], s[2:3]
	v_mul_f64 v[2:3], v[50:51], s[2:3]
	v_fma_f64 v[58:59], v[50:51], s[16:17], -v[0:1]
	v_mul_f64 v[0:1], v[90:91], s[20:21]
	v_fma_f64 v[152:153], v[48:49], s[14:15], -v[2:3]
	v_mul_f64 v[2:3], v[112:113], s[20:21]
	v_mul_f64 v[52:53], v[86:87], s[20:21]
	v_fma_f64 v[62:63], v[112:113], s[18:19], -v[0:1]
	v_mul_f64 v[118:119], v[86:87], s[0:1]
	v_fma_f64 v[90:91], v[90:91], s[0:1], -v[2:3]
	v_fmac_f64_e32 v[52:53], s[18:19], v[60:61]
	v_add_f64 v[148:149], v[44:45], v[58:59]
	v_add_f64 v[0:1], v[92:93], v[62:63]
	v_fmac_f64_e32 v[118:119], s[20:21], v[60:61]
	v_add_f64 v[150:151], v[46:47], v[152:153]
	v_add_f64 v[2:3], v[88:89], v[90:91]
	v_add_f64 v[60:61], v[44:45], -v[58:59]
	v_add_f64 v[44:45], v[92:93], -v[62:63]
	;; [unrolled: 1-line block ×4, first 2 shown]
	v_mul_u32_u24_e32 v88, 10, v158
	v_mul_f64 v[54:55], v[56:57], s[16:17]
	v_add_lshl_u32 v230, v159, v88, 4
	v_fmac_f64_e32 v[54:55], s[2:3], v[116:117]
	v_mul_f64 v[116:117], v[116:117], s[14:15]
	s_waitcnt lgkmcnt(0)
	; wave barrier
	ds_write_b128 v230, v[12:15]
	ds_write_b128 v230, v[8:11] offset:16
	ds_write_b128 v230, v[4:7] offset:32
	;; [unrolled: 1-line block ×9, first 2 shown]
	v_mul_u32_u24_e32 v4, 10, v114
	v_fmac_f64_e32 v[116:117], s[2:3], v[56:57]
	v_add_lshl_u32 v229, v159, v4, 4
	v_mul_u32_u24_e32 v4, 10, v115
	v_add_f64 v[144:145], v[98:99], v[106:107]
	v_add_f64 v[84:85], v[104:105], v[54:55]
	;; [unrolled: 1-line block ×4, first 2 shown]
	v_add_lshl_u32 v231, v159, v4, 4
	v_add_f64 v[140:141], v[100:101], v[52:53]
	v_add_f64 v[142:143], v[96:97], v[118:119]
	v_add_f64 v[48:49], v[98:99], -v[106:107]
	v_add_f64 v[52:53], v[100:101], -v[52:53]
	;; [unrolled: 1-line block ×6, first 2 shown]
	ds_write_b128 v229, v[72:75]
	ds_write_b128 v229, v[68:71] offset:16
	ds_write_b128 v229, v[64:67] offset:32
	;; [unrolled: 1-line block ×9, first 2 shown]
	ds_write_b128 v231, v[144:147]
	ds_write_b128 v231, v[140:143] offset:16
	ds_write_b128 v231, v[84:87] offset:32
	;; [unrolled: 1-line block ×9, first 2 shown]
	s_waitcnt lgkmcnt(0)
	; wave barrier
	s_waitcnt lgkmcnt(0)
	ds_read_b128 v[12:15], v208
	ds_read_b128 v[232:235], v228 offset:960
	ds_read_b128 v[180:183], v228 offset:1920
	ds_read_b128 v[88:91], v228 offset:2880
	ds_read_b128 v[72:75], v228 offset:3840
	ds_read_b128 v[36:39], v228 offset:4800
	ds_read_b128 v[28:31], v228 offset:5760
	ds_read_b128 v[24:27], v228 offset:6720
	ds_read_b128 v[8:11], v228 offset:256
	ds_read_b128 v[92:95], v228 offset:1216
	ds_read_b128 v[188:191], v228 offset:2176
	ds_read_b128 v[96:99], v228 offset:3136
	ds_read_b128 v[104:107], v228 offset:4096
	ds_read_b128 v[76:79], v228 offset:5056
	ds_read_b128 v[84:87], v228 offset:6016
	ds_read_b128 v[64:67], v228 offset:6976
	ds_read_b128 a[0:3], v228 offset:512
	ds_read_b128 v[100:103], v228 offset:1472
	ds_read_b128 v[80:83], v228 offset:2432
	ds_read_b128 v[68:71], v228 offset:3392
	ds_read_b128 v[40:43], v228 offset:4352
	ds_read_b128 v[32:35], v228 offset:5312
	ds_read_b128 v[20:23], v228 offset:6272
	ds_read_b128 v[16:19], v228 offset:7232
	s_and_saveexec_b64 s[0:1], vcc
	s_cbranch_execz .LBB0_3
; %bb.2:
	ds_read_b128 v[0:3], v228 offset:768
	ds_read_b128 v[48:51], v228 offset:1728
	;; [unrolled: 1-line block ×8, first 2 shown]
.LBB0_3:
	s_or_b64 exec, exec, s[0:1]
	v_add_u32_e32 v109, -10, v158
	v_cmp_gt_u32_e64 s[0:1], 10, v158
	v_mul_lo_u16_e32 v159, 26, v114
	v_mov_b64_e32 v[112:113], s[10:11]
	v_cndmask_b32_e64 v132, v109, v158, s[0:1]
	v_mul_hi_i32_i24_e32 v111, 0x70, v132
	v_mul_i32_i24_e32 v110, 0x70, v132
	v_lshl_add_u64 v[110:111], s[10:11], 0, v[110:111]
	global_load_dwordx4 v[134:137], v[110:111], off
	global_load_dwordx4 v[138:141], v[110:111], off offset:16
	global_load_dwordx4 v[142:145], v[110:111], off offset:32
	;; [unrolled: 1-line block ×6, first 2 shown]
	v_mov_b32_e32 v109, 10
	v_mul_lo_u16_sdwa v110, v159, v109 dst_sel:DWORD dst_unused:UNUSED_PAD src0_sel:BYTE_1 src1_sel:DWORD
	v_sub_u16_e32 v209, v114, v110
	s_movk_i32 s0, 0x70
	v_and_b32_e32 v110, 0xff, v209
	v_mad_u64_u32 v[110:111], s[2:3], v110, s0, v[112:113]
	v_mul_lo_u16_e32 v226, 26, v115
	global_load_dwordx4 v[204:207], v[110:111], off
	global_load_dwordx4 v[200:203], v[110:111], off offset:16
	global_load_dwordx4 v[196:199], v[110:111], off offset:32
	;; [unrolled: 1-line block ×5, first 2 shown]
	v_mul_lo_u16_sdwa v114, v226, v109 dst_sel:DWORD dst_unused:UNUSED_PAD src0_sel:BYTE_1 src1_sel:DWORD
	v_sub_u16_e32 v114, v115, v114
	global_load_dwordx4 v[218:221], v[110:111], off offset:96
	v_and_b32_e32 v227, 0xff, v114
	v_mad_u64_u32 v[110:111], s[2:3], v227, s0, v[112:113]
	global_load_dwordx4 v[248:251], v[110:111], off
	global_load_dwordx4 v[244:247], v[110:111], off offset:16
	global_load_dwordx4 v[222:225], v[110:111], off offset:32
	;; [unrolled: 1-line block ×3, first 2 shown]
	v_mul_lo_u16_e32 v114, 26, v108
	v_mul_lo_u16_sdwa v109, v114, v109 dst_sel:DWORD dst_unused:UNUSED_PAD src0_sel:BYTE_1 src1_sel:DWORD
	v_sub_u16_e32 v108, v108, v109
	s_waitcnt lgkmcnt(7)
	v_accvgpr_write_b32 a7, v3
	v_and_b32_e32 v108, 0xff, v108
	v_accvgpr_write_b32 a6, v2
	v_accvgpr_write_b32 a5, v1
	;; [unrolled: 1-line block ×3, first 2 shown]
	v_mad_u64_u32 v[120:121], s[0:1], v108, s0, v[112:113]
	global_load_dwordx4 v[0:3], v[110:111], off offset:64
	global_load_dwordx4 v[252:255], v[110:111], off offset:80
	;; [unrolled: 1-line block ×5, first 2 shown]
	global_load_dwordx4 v[168:171], v[120:121], off
	global_load_dwordx4 v[172:175], v[120:121], off offset:48
	global_load_dwordx4 v[176:179], v[120:121], off offset:64
	v_accvgpr_write_b32 a140, v108
	v_accvgpr_write_b32 a139, v114
	v_mov_b32_e32 v133, 0x50
	v_cmp_lt_u32_e64 s[0:1], 9, v158
	s_mov_b32 s3, 0x3fe6a09e
	s_movk_i32 s16, 0x50
	v_cndmask_b32_e64 v133, 0, v133, s[0:1]
	v_or_b32_e32 v132, v132, v133
	s_mov_b32 s0, 0x667f3bcd
	s_mov_b32 s1, 0xbfe6a09e
	;; [unrolled: 1-line block ×3, first 2 shown]
	s_waitcnt vmcnt(25)
	v_mul_f64 v[108:109], v[234:235], v[136:137]
	v_mul_f64 v[122:123], v[232:233], v[136:137]
	s_waitcnt vmcnt(24)
	v_mul_f64 v[110:111], v[182:183], v[140:141]
	v_fma_f64 v[126:127], v[232:233], v[134:135], -v[108:109]
	v_accvgpr_write_b32 a177, v137
	s_waitcnt vmcnt(23)
	v_mul_f64 v[108:109], v[90:91], v[144:145]
	v_accvgpr_write_b32 a173, v141
	v_mul_f64 v[124:125], v[180:181], v[140:141]
	v_accvgpr_write_b32 a176, v136
	v_accvgpr_write_b32 a175, v135
	;; [unrolled: 1-line block ×3, first 2 shown]
	v_fmac_f64_e32 v[122:123], v[234:235], v[134:135]
	v_mul_f64 v[134:135], v[88:89], v[144:145]
	v_fma_f64 v[136:137], v[180:181], v[138:139], -v[110:111]
	v_accvgpr_write_b32 a172, v140
	v_accvgpr_write_b32 a171, v139
	v_accvgpr_write_b32 a170, v138
	s_waitcnt vmcnt(22)
	v_mul_f64 v[110:111], v[74:75], v[118:119]
	v_fma_f64 v[140:141], v[88:89], v[142:143], -v[108:109]
	v_accvgpr_write_b32 a169, v145
	s_waitcnt vmcnt(21)
	v_mul_f64 v[88:89], v[38:39], v[152:153]
	v_fmac_f64_e32 v[124:125], v[182:183], v[138:139]
	v_mul_f64 v[138:139], v[72:73], v[118:119]
	v_accvgpr_write_b32 a168, v144
	v_accvgpr_write_b32 a167, v143
	;; [unrolled: 1-line block ×3, first 2 shown]
	v_fmac_f64_e32 v[134:135], v[90:91], v[142:143]
	v_mul_f64 v[142:143], v[36:37], v[152:153]
	v_fma_f64 v[144:145], v[72:73], v[116:117], -v[110:111]
	s_waitcnt vmcnt(20)
	v_mul_f64 v[72:73], v[30:31], v[156:157]
	v_mul_f64 v[146:147], v[28:29], v[156:157]
	v_fma_f64 v[148:149], v[36:37], v[150:151], -v[88:89]
	v_accvgpr_write_b32 a185, v153
	s_waitcnt vmcnt(19)
	v_mul_f64 v[36:37], v[26:27], v[186:187]
	v_accvgpr_write_b32 a181, v157
	v_accvgpr_write_b32 a184, v152
	;; [unrolled: 1-line block ×4, first 2 shown]
	v_fmac_f64_e32 v[142:143], v[38:39], v[150:151]
	v_mul_f64 v[150:151], v[24:25], v[186:187]
	v_fma_f64 v[152:153], v[28:29], v[154:155], -v[72:73]
	v_accvgpr_write_b32 a180, v156
	v_accvgpr_write_b32 a179, v155
	;; [unrolled: 1-line block ×3, first 2 shown]
	v_fmac_f64_e32 v[146:147], v[30:31], v[154:155]
	v_fma_f64 v[154:155], v[24:25], v[184:185], -v[36:37]
	s_waitcnt vmcnt(18)
	v_mul_f64 v[24:25], v[94:95], v[206:207]
	v_fma_f64 v[90:91], v[92:93], v[204:205], -v[24:25]
	s_waitcnt vmcnt(16)
	v_mul_f64 v[24:25], v[98:99], v[198:199]
	v_mul_f64 v[88:89], v[92:93], v[206:207]
	v_fma_f64 v[92:93], v[96:97], v[196:197], -v[24:25]
	s_waitcnt vmcnt(15)
	v_mul_f64 v[24:25], v[106:107], v[194:195]
	v_fma_f64 v[112:113], v[104:105], v[192:193], -v[24:25]
	s_waitcnt vmcnt(14)
	v_mul_f64 v[24:25], v[78:79], v[216:217]
	v_accvgpr_write_b32 a165, v119
	v_fmac_f64_e32 v[88:89], v[94:95], v[204:205]
	v_mul_f64 v[94:95], v[96:97], v[198:199]
	v_fma_f64 v[96:97], v[76:77], v[214:215], -v[24:25]
	s_waitcnt vmcnt(13)
	v_mul_f64 v[24:25], v[86:87], v[212:213]
	v_accvgpr_write_b32 a164, v118
	v_accvgpr_write_b32 a163, v117
	v_accvgpr_write_b32 a162, v116
	v_fmac_f64_e32 v[138:139], v[74:75], v[116:117]
	v_mul_f64 v[104:105], v[104:105], v[194:195]
	v_fma_f64 v[116:117], v[84:85], v[210:211], -v[24:25]
	s_waitcnt vmcnt(12)
	v_mul_f64 v[24:25], v[66:67], v[220:221]
	v_fmac_f64_e32 v[104:105], v[106:107], v[192:193]
	v_fma_f64 v[106:107], v[64:65], v[218:219], -v[24:25]
	s_waitcnt vmcnt(11) lgkmcnt(6)
	v_mul_f64 v[24:25], v[102:103], v[250:251]
	v_fma_f64 v[36:37], v[100:101], v[248:249], -v[24:25]
	s_waitcnt vmcnt(10) lgkmcnt(5)
	v_mul_f64 v[24:25], v[82:83], v[246:247]
	;; [unrolled: 3-line block ×3, first 2 shown]
	v_mul_f64 v[114:115], v[64:65], v[220:221]
	v_fma_f64 v[64:65], v[68:69], v[222:223], -v[24:25]
	s_waitcnt vmcnt(8) lgkmcnt(3)
	v_mul_f64 v[24:25], v[42:43], v[130:131]
	v_fmac_f64_e32 v[94:95], v[98:99], v[196:197]
	v_mul_f64 v[98:99], v[76:77], v[216:217]
	v_fma_f64 v[76:77], v[40:41], v[128:129], -v[24:25]
	s_waitcnt vmcnt(7) lgkmcnt(2)
	v_mul_f64 v[24:25], v[34:35], v[2:3]
	v_mul_f64 v[118:119], v[84:85], v[212:213]
	v_fmac_f64_e32 v[114:115], v[66:67], v[218:219]
	v_mul_f64 v[66:67], v[68:69], v[224:225]
	v_fma_f64 v[68:69], v[32:33], v[0:1], -v[24:25]
	s_waitcnt vmcnt(6) lgkmcnt(1)
	v_mul_f64 v[24:25], v[22:23], v[254:255]
	v_fmac_f64_e32 v[118:119], v[86:87], v[210:211]
	v_mul_f64 v[74:75], v[80:81], v[246:247]
	v_fma_f64 v[84:85], v[20:21], v[252:253], -v[24:25]
	v_mul_f64 v[86:87], v[20:21], v[254:255]
	s_waitcnt vmcnt(3) lgkmcnt(0)
	v_mul_f64 v[20:21], v[18:19], v[6:7]
	v_fmac_f64_e32 v[74:75], v[82:83], v[244:245]
	v_fma_f64 v[80:81], v[16:17], v[4:5], -v[20:21]
	v_mul_f64 v[82:83], v[16:17], v[6:7]
	s_waitcnt vmcnt(2)
	v_mul_f64 v[16:17], v[50:51], v[170:171]
	v_fmac_f64_e32 v[150:151], v[26:27], v[184:185]
	v_mul_f64 v[26:27], v[190:191], v[202:203]
	v_fma_f64 v[20:21], v[48:49], v[168:169], -v[16:17]
	v_mul_f64 v[16:17], v[54:55], v[162:163]
	v_mul_f64 v[30:31], v[52:53], v[162:163]
	v_fma_f64 v[110:111], v[188:189], v[200:201], -v[26:27]
	v_fma_f64 v[28:29], v[52:53], v[160:161], -v[16:17]
	v_fmac_f64_e32 v[30:31], v[54:55], v[160:161]
	v_mul_f64 v[16:17], v[58:59], v[166:167]
	v_mul_f64 v[26:27], v[56:57], v[166:167]
	global_load_dwordx4 v[52:55], v[120:121], off offset:80
	v_fma_f64 v[24:25], v[56:57], v[164:165], -v[16:17]
	v_fmac_f64_e32 v[26:27], v[58:59], v[164:165]
	global_load_dwordx4 v[56:59], v[120:121], off offset:96
	s_waitcnt vmcnt(3)
	v_mul_f64 v[16:17], v[62:63], v[174:175]
	v_fmac_f64_e32 v[98:99], v[78:79], v[214:215]
	v_fmac_f64_e32 v[66:67], v[70:71], v[222:223]
	v_mul_f64 v[78:79], v[40:41], v[130:131]
	v_mul_f64 v[70:71], v[32:33], v[2:3]
	v_fma_f64 v[32:33], v[60:61], v[172:173], -v[16:17]
	s_waitcnt vmcnt(2)
	v_mul_f64 v[16:17], v[46:47], v[178:179]
	v_fmac_f64_e32 v[78:79], v[42:43], v[128:129]
	v_fmac_f64_e32 v[70:71], v[34:35], v[0:1]
	v_mul_f64 v[34:35], v[60:61], v[174:175]
	v_fma_f64 v[40:41], v[44:45], v[176:177], -v[16:17]
	v_mul_f64 v[42:43], v[44:45], v[178:179]
	v_mul_f64 v[38:39], v[100:101], v[250:251]
	v_fmac_f64_e32 v[86:87], v[22:23], v[252:253]
	v_mul_f64 v[22:23], v[48:49], v[170:171]
	v_fmac_f64_e32 v[34:35], v[62:63], v[172:173]
	v_fmac_f64_e32 v[42:43], v[46:47], v[176:177]
	v_add_f64 v[100:101], v[136:137], -v[152:153]
	v_add_f64 v[60:61], v[126:127], -v[148:149]
	v_add_f64 v[62:63], v[122:123], -v[142:143]
	v_fmac_f64_e32 v[38:39], v[102:103], v[248:249]
	v_add_f64 v[102:103], v[124:125], -v[146:147]
	v_fmac_f64_e32 v[82:83], v[18:19], v[4:5]
	v_fmac_f64_e32 v[22:23], v[50:51], v[168:169]
	v_fma_f64 v[18:19], v[124:125], 2.0, -v[102:103]
	v_accvgpr_write_b32 a245, v131
	v_accvgpr_write_b32 a244, v130
	v_accvgpr_write_b32 a243, v129
	v_accvgpr_write_b32 a242, v128
	s_waitcnt lgkmcnt(0)
	; wave barrier
	v_mul_f64 v[108:109], v[188:189], v[202:203]
	v_fmac_f64_e32 v[108:109], v[190:191], v[200:201]
	v_add_f64 v[96:97], v[90:91], -v[96:97]
	v_add_f64 v[98:99], v[88:89], -v[98:99]
	v_add_f64 v[106:107], v[92:93], -v[106:107]
	v_add_f64 v[114:115], v[94:95], -v[114:115]
	v_fma_f64 v[90:91], v[90:91], 2.0, -v[96:97]
	v_fma_f64 v[88:89], v[88:89], 2.0, -v[98:99]
	;; [unrolled: 1-line block ×4, first 2 shown]
	v_accvgpr_write_b32 a249, v3
	v_accvgpr_write_b32 a248, v2
	;; [unrolled: 1-line block ×4, first 2 shown]
	v_accvgpr_read_b32 v0, a0
	v_accvgpr_read_b32 v1, a1
	;; [unrolled: 1-line block ×4, first 2 shown]
	v_accvgpr_write_b32 a253, v7
	v_add_f64 v[68:69], v[36:37], -v[68:69]
	v_add_f64 v[70:71], v[38:39], -v[70:71]
	v_accvgpr_write_b32 a252, v6
	v_accvgpr_write_b32 a251, v5
	;; [unrolled: 1-line block ×3, first 2 shown]
	v_fma_f64 v[36:37], v[36:37], 2.0, -v[68:69]
	v_fma_f64 v[38:39], v[38:39], 2.0, -v[70:71]
	v_accvgpr_write_b32 a189, v187
	v_accvgpr_write_b32 a209, v207
	;; [unrolled: 1-line block ×19, first 2 shown]
	s_waitcnt vmcnt(1)
	v_mul_f64 v[16:17], v[238:239], v[54:55]
	v_fma_f64 v[48:49], v[236:237], v[52:53], -v[16:17]
	v_mul_f64 v[50:51], v[236:237], v[54:55]
	s_waitcnt vmcnt(0)
	v_mul_f64 v[16:17], v[242:243], v[58:59]
	v_mul_f64 v[46:47], v[240:241], v[58:59]
	v_accvgpr_write_b32 a213, v59
	v_fma_f64 v[44:45], v[240:241], v[56:57], -v[16:17]
	v_accvgpr_write_b32 a212, v58
	v_accvgpr_write_b32 a211, v57
	;; [unrolled: 1-line block ×3, first 2 shown]
	v_fmac_f64_e32 v[46:47], v[242:243], v[56:57]
	v_add_f64 v[56:57], v[12:13], -v[144:145]
	v_add_f64 v[58:59], v[14:15], -v[138:139]
	v_fma_f64 v[16:17], v[136:137], 2.0, -v[100:101]
	v_fma_f64 v[136:137], v[126:127], 2.0, -v[60:61]
	;; [unrolled: 1-line block ×3, first 2 shown]
	v_add_f64 v[122:123], v[140:141], -v[154:155]
	v_add_f64 v[126:127], v[134:135], -v[150:151]
	v_accvgpr_write_b32 a205, v55
	v_fma_f64 v[12:13], v[12:13], 2.0, -v[56:57]
	v_fma_f64 v[14:15], v[14:15], 2.0, -v[58:59]
	;; [unrolled: 1-line block ×4, first 2 shown]
	v_accvgpr_write_b32 a204, v54
	v_accvgpr_write_b32 a203, v53
	;; [unrolled: 1-line block ×3, first 2 shown]
	v_fmac_f64_e32 v[50:51], v[238:239], v[52:53]
	v_add_f64 v[52:53], v[12:13], -v[16:17]
	v_add_f64 v[54:55], v[14:15], -v[18:19]
	;; [unrolled: 1-line block ×4, first 2 shown]
	v_fma_f64 v[16:17], v[12:13], 2.0, -v[52:53]
	v_fma_f64 v[18:19], v[14:15], 2.0, -v[54:55]
	v_fma_f64 v[12:13], v[136:137], 2.0, -v[120:121]
	v_fma_f64 v[14:15], v[138:139], 2.0, -v[124:125]
	v_add_f64 v[12:13], v[16:17], -v[12:13]
	v_add_f64 v[14:15], v[18:19], -v[14:15]
	v_accvgpr_read_b32 v140, a83
	v_fma_f64 v[16:17], v[16:17], 2.0, -v[12:13]
	v_fma_f64 v[18:19], v[18:19], 2.0, -v[14:15]
	v_add_lshl_u32 v128, v140, v132, 4
	ds_write_b128 v128, v[16:19]
	v_add_f64 v[18:19], v[58:59], v[100:101]
	v_add_f64 v[132:133], v[62:63], v[122:123]
	v_add_f64 v[16:17], v[56:57], -v[102:103]
	v_fma_f64 v[102:103], v[58:59], 2.0, -v[18:19]
	v_add_f64 v[126:127], v[60:61], -v[126:127]
	v_fma_f64 v[62:63], v[62:63], 2.0, -v[132:133]
	v_fma_f64 v[100:101], v[56:57], 2.0, -v[16:17]
	;; [unrolled: 1-line block ×3, first 2 shown]
	v_fma_f64 v[58:59], s[0:1], v[62:63], v[102:103]
	v_fma_f64 v[56:57], s[0:1], v[60:61], v[100:101]
	v_fmac_f64_e32 v[58:59], s[2:3], v[60:61]
	v_fmac_f64_e32 v[56:57], s[0:1], v[62:63]
	v_fma_f64 v[62:63], v[102:103], 2.0, -v[58:59]
	v_add_f64 v[102:103], v[54:55], v[120:121]
	v_fma_f64 v[120:121], s[2:3], v[126:127], v[16:17]
	v_fma_f64 v[122:123], s[2:3], v[132:133], v[18:19]
	v_fmac_f64_e32 v[120:121], s[0:1], v[132:133]
	v_fmac_f64_e32 v[122:123], s[2:3], v[126:127]
	v_fma_f64 v[60:61], v[100:101], 2.0, -v[56:57]
	v_add_f64 v[100:101], v[52:53], -v[124:125]
	v_fma_f64 v[124:125], v[16:17], 2.0, -v[120:121]
	v_fma_f64 v[126:127], v[18:19], 2.0, -v[122:123]
	v_add_f64 v[16:17], v[8:9], -v[112:113]
	v_add_f64 v[18:19], v[10:11], -v[104:105]
	;; [unrolled: 1-line block ×4, first 2 shown]
	v_fma_f64 v[8:9], v[8:9], 2.0, -v[16:17]
	v_fma_f64 v[10:11], v[10:11], 2.0, -v[18:19]
	;; [unrolled: 1-line block ×4, first 2 shown]
	v_add_f64 v[116:117], v[8:9], -v[110:111]
	v_add_f64 v[118:119], v[10:11], -v[108:109]
	;; [unrolled: 1-line block ×4, first 2 shown]
	v_fma_f64 v[8:9], v[8:9], 2.0, -v[116:117]
	v_fma_f64 v[10:11], v[10:11], 2.0, -v[118:119]
	;; [unrolled: 1-line block ×4, first 2 shown]
	v_add_f64 v[88:89], v[8:9], -v[90:91]
	v_add_f64 v[90:91], v[10:11], -v[92:93]
	v_fma_f64 v[92:93], v[8:9], 2.0, -v[88:89]
	v_fma_f64 v[94:95], v[10:11], 2.0, -v[90:91]
	v_add_f64 v[8:9], v[16:17], -v[112:113]
	v_add_f64 v[10:11], v[18:19], v[104:105]
	v_add_f64 v[132:133], v[96:97], -v[114:115]
	v_add_f64 v[134:135], v[98:99], v[106:107]
	v_fma_f64 v[16:17], v[16:17], 2.0, -v[8:9]
	v_fma_f64 v[18:19], v[18:19], 2.0, -v[10:11]
	;; [unrolled: 1-line block ×4, first 2 shown]
	v_add_f64 v[108:109], v[116:117], -v[108:109]
	v_add_f64 v[110:111], v[118:119], v[110:111]
	v_fma_f64 v[96:97], s[0:1], v[104:105], v[16:17]
	v_fma_f64 v[98:99], s[0:1], v[106:107], v[18:19]
	v_fma_f64 v[112:113], v[116:117], 2.0, -v[108:109]
	v_fma_f64 v[114:115], v[118:119], 2.0, -v[110:111]
	v_fma_f64 v[116:117], s[2:3], v[132:133], v[8:9]
	v_fma_f64 v[118:119], s[2:3], v[134:135], v[10:11]
	v_fmac_f64_e32 v[96:97], s[0:1], v[106:107]
	v_fmac_f64_e32 v[98:99], s[2:3], v[104:105]
	;; [unrolled: 1-line block ×4, first 2 shown]
	v_fma_f64 v[104:105], v[16:17], 2.0, -v[96:97]
	v_fma_f64 v[106:107], v[18:19], 2.0, -v[98:99]
	;; [unrolled: 1-line block ×4, first 2 shown]
	v_add_f64 v[8:9], v[0:1], -v[76:77]
	v_add_f64 v[10:11], v[2:3], -v[78:79]
	;; [unrolled: 1-line block ×6, first 2 shown]
	v_fma_f64 v[4:5], v[0:1], 2.0, -v[8:9]
	v_fma_f64 v[6:7], v[2:3], 2.0, -v[10:11]
	;; [unrolled: 1-line block ×6, first 2 shown]
	v_add_f64 v[80:81], v[4:5], -v[72:73]
	v_add_f64 v[82:83], v[6:7], -v[74:75]
	;; [unrolled: 1-line block ×4, first 2 shown]
	v_fma_f64 v[4:5], v[4:5], 2.0, -v[80:81]
	v_fma_f64 v[6:7], v[6:7], 2.0, -v[82:83]
	;; [unrolled: 1-line block ×4, first 2 shown]
	v_add_f64 v[36:37], v[4:5], -v[36:37]
	v_add_f64 v[38:39], v[6:7], -v[38:39]
	v_fma_f64 v[64:65], v[4:5], 2.0, -v[36:37]
	v_fma_f64 v[66:67], v[6:7], 2.0, -v[38:39]
	v_add_f64 v[4:5], v[8:9], -v[18:19]
	v_add_f64 v[6:7], v[10:11], v[16:17]
	v_add_f64 v[16:17], v[68:69], -v[78:79]
	v_fma_f64 v[52:53], v[52:53], 2.0, -v[100:101]
	v_fma_f64 v[54:55], v[54:55], 2.0, -v[102:103]
	;; [unrolled: 1-line block ×3, first 2 shown]
	v_add_f64 v[18:19], v[70:71], v[76:77]
	v_fma_f64 v[72:73], v[68:69], 2.0, -v[16:17]
	v_fma_f64 v[10:11], v[10:11], 2.0, -v[6:7]
	;; [unrolled: 1-line block ×3, first 2 shown]
	v_fma_f64 v[68:69], s[0:1], v[72:73], v[8:9]
	v_add_f64 v[76:77], v[80:81], -v[86:87]
	v_fma_f64 v[86:87], s[2:3], v[18:19], v[6:7]
	v_accvgpr_read_b32 v0, a4
	ds_write_b128 v128, v[60:63] offset:160
	ds_write_b128 v128, v[52:55] offset:320
	;; [unrolled: 1-line block ×6, first 2 shown]
	v_mul_lo_u16_sdwa v12, v159, s16 dst_sel:DWORD dst_unused:UNUSED_PAD src0_sel:BYTE_1 src1_sel:DWORD
	v_fma_f64 v[70:71], s[0:1], v[74:75], v[10:11]
	v_fmac_f64_e32 v[68:69], s[0:1], v[74:75]
	v_add_f64 v[78:79], v[82:83], v[84:85]
	v_fma_f64 v[84:85], s[2:3], v[16:17], v[4:5]
	v_fmac_f64_e32 v[86:87], s[2:3], v[16:17]
	v_accvgpr_read_b32 v1, a5
	v_accvgpr_read_b32 v2, a6
	v_accvgpr_read_b32 v3, a7
	v_add_f64 v[16:17], v[28:29], -v[48:49]
	v_or_b32_e32 v12, v12, v209
	v_fmac_f64_e32 v[70:71], s[2:3], v[72:73]
	v_fma_f64 v[72:73], v[8:9], 2.0, -v[68:69]
	v_fmac_f64_e32 v[84:85], s[0:1], v[18:19]
	v_fma_f64 v[138:139], v[6:7], 2.0, -v[86:87]
	v_add_f64 v[8:9], v[0:1], -v[32:33]
	v_add_f64 v[32:33], v[2:3], -v[34:35]
	;; [unrolled: 1-line block ×3, first 2 shown]
	v_fma_f64 v[6:7], v[28:29], 2.0, -v[16:17]
	v_add_f64 v[28:29], v[20:21], -v[40:41]
	v_add_f64 v[40:41], v[24:25], -v[44:45]
	v_and_b32_e32 v12, 0xff, v12
	v_fma_f64 v[136:137], v[4:5], 2.0, -v[84:85]
	v_fma_f64 v[4:5], v[2:3], 2.0, -v[32:33]
	;; [unrolled: 1-line block ×3, first 2 shown]
	v_add_f64 v[30:31], v[22:23], -v[42:43]
	v_fma_f64 v[2:3], v[20:21], 2.0, -v[28:29]
	v_add_f64 v[42:43], v[26:27], -v[46:47]
	v_fma_f64 v[20:21], v[24:25], 2.0, -v[40:41]
	v_add_lshl_u32 v12, v140, v12, 4
	v_fma_f64 v[74:75], v[10:11], 2.0, -v[70:71]
	v_fma_f64 v[0:1], v[0:1], 2.0, -v[8:9]
	;; [unrolled: 1-line block ×4, first 2 shown]
	v_add_f64 v[18:19], v[4:5], -v[18:19]
	v_add_f64 v[24:25], v[32:33], v[16:17]
	v_add_f64 v[16:17], v[2:3], -v[20:21]
	ds_write_b128 v128, v[120:123] offset:1120
	ds_write_b128 v12, v[92:95]
	ds_write_b128 v12, v[104:107] offset:160
	ds_write_b128 v12, v[112:115] offset:320
	;; [unrolled: 1-line block ×6, first 2 shown]
	v_accvgpr_write_b32 a254, v12
	ds_write_b128 v12, v[116:119] offset:1120
	v_mul_u32_u24_sdwa v12, v226, s16 dst_sel:DWORD dst_unused:UNUSED_PAD src0_sel:BYTE_1 src1_sel:DWORD
	v_add_f64 v[6:7], v[0:1], -v[6:7]
	v_add_f64 v[22:23], v[8:9], -v[34:35]
	;; [unrolled: 1-line block ×4, first 2 shown]
	v_add_f64 v[34:35], v[30:31], v[40:41]
	v_add_f64 v[42:43], v[18:19], v[16:17]
	v_or_b32_e32 v12, v12, v227
	v_add_f64 v[40:41], v[6:7], -v[20:21]
	v_accvgpr_write_b32 a129, v43
	v_fma_f64 v[240:241], s[2:3], v[26:27], v[22:23]
	v_fma_f64 v[242:243], s[2:3], v[34:35], v[24:25]
	v_add_lshl_u32 v12, v140, v12, 4
	v_accvgpr_write_b32 a186, v184
	v_accvgpr_write_b32 a208, v206
	;; [unrolled: 1-line block ×52, first 2 shown]
	v_fmac_f64_e32 v[240:241], s[0:1], v[34:35]
	v_fmac_f64_e32 v[242:243], s[2:3], v[26:27]
	v_accvgpr_write_b32 a141, v128
	v_accvgpr_write_b32 a255, v12
	v_fma_f64 v[80:81], v[80:81], 2.0, -v[76:77]
	v_fma_f64 v[82:83], v[82:83], 2.0, -v[78:79]
	ds_write_b128 v12, v[64:67]
	ds_write_b128 v12, v[72:75] offset:160
	ds_write_b128 v12, v[80:83] offset:320
	ds_write_b128 v12, v[136:139] offset:480
	ds_write_b128 v12, v[36:39] offset:640
	ds_write_b128 v12, v[68:71] offset:800
	ds_write_b128 v12, v[76:79] offset:960
	ds_write_b128 v12, v[84:87] offset:1120
	s_and_saveexec_b64 s[14:15], vcc
	s_cbranch_execz .LBB0_5
; %bb.4:
	v_accvgpr_read_b32 v40, a126
	v_fma_f64 v[26:27], v[28:29], 2.0, -v[26:27]
	v_fma_f64 v[8:9], v[8:9], 2.0, -v[22:23]
	;; [unrolled: 1-line block ×5, first 2 shown]
	v_accvgpr_read_b32 v41, a127
	v_fma_f64 v[32:33], v[32:33], 2.0, -v[24:25]
	v_fma_f64 v[30:31], v[30:31], 2.0, -v[34:35]
	v_fma_f64 v[22:23], s[0:1], v[26:27], v[8:9]
	v_add_f64 v[2:3], v[0:1], -v[2:3]
	v_fma_f64 v[14:15], v[24:25], 2.0, -v[242:243]
	v_fma_f64 v[36:37], v[6:7], 2.0, -v[40:41]
	v_fma_f64 v[24:25], s[0:1], v[30:31], v[32:33]
	v_fmac_f64_e32 v[22:23], s[0:1], v[30:31]
	v_fma_f64 v[6:7], v[0:1], 2.0, -v[2:3]
	v_accvgpr_read_b32 v0, a139
	v_fmac_f64_e32 v[24:25], s[2:3], v[26:27]
	v_fma_f64 v[26:27], v[8:9], 2.0, -v[22:23]
	v_fma_f64 v[8:9], v[4:5], 2.0, -v[18:19]
	;; [unrolled: 1-line block ×3, first 2 shown]
	v_mul_u32_u24_sdwa v0, v0, s16 dst_sel:DWORD dst_unused:UNUSED_PAD src0_sel:BYTE_1 src1_sel:DWORD
	v_accvgpr_read_b32 v1, a140
	v_add_f64 v[4:5], v[8:9], -v[4:5]
	v_or_b32_e32 v0, v0, v1
	v_accvgpr_read_b32 v1, a83
	v_accvgpr_read_b32 v42, a128
	;; [unrolled: 1-line block ×3, first 2 shown]
	v_fma_f64 v[8:9], v[8:9], 2.0, -v[4:5]
	v_add_lshl_u32 v0, v1, v0, 4
	v_fma_f64 v[38:39], v[18:19], 2.0, -v[42:43]
	v_fma_f64 v[28:29], v[32:33], 2.0, -v[24:25]
	ds_write_b128 v0, v[6:9]
	ds_write_b128 v0, v[26:29] offset:160
	ds_write_b128 v0, v[36:39] offset:320
	;; [unrolled: 1-line block ×7, first 2 shown]
.LBB0_5:
	s_or_b64 exec, exec, s[14:15]
	v_mov_b64_e32 v[0:1], s[10:11]
	v_mad_u64_u32 v[60:61], s[0:1], v158, s16, v[0:1]
	s_waitcnt lgkmcnt(0)
	; wave barrier
	s_waitcnt lgkmcnt(0)
	global_load_dwordx4 v[210:213], v[60:61], off offset:1120
	global_load_dwordx4 v[8:11], v[60:61], off offset:1136
	global_load_dwordx4 v[4:7], v[60:61], off offset:1152
	global_load_dwordx4 v[0:3], v[60:61], off offset:1168
	global_load_dwordx4 v[218:221], v[60:61], off offset:1184
	global_load_dwordx4 v[16:19], v[60:61], off offset:2400
	global_load_dwordx4 v[214:217], v[60:61], off offset:2432
	global_load_dwordx4 v[12:15], v[60:61], off offset:2416
	ds_read_b128 v[100:103], v208
	ds_read_b128 v[96:99], v228 offset:256
	ds_read_b128 v[152:155], v228 offset:2560
	;; [unrolled: 1-line block ×5, first 2 shown]
	global_load_dwordx4 v[232:235], v[60:61], off offset:2448
	ds_read_b128 v[116:119], v228 offset:1536
	ds_read_b128 v[108:111], v228 offset:1792
	global_load_dwordx4 v[24:27], v[60:61], off offset:2464
	ds_read_b128 v[124:127], v228 offset:4096
	ds_read_b128 v[120:123], v228 offset:4352
	global_load_dwordx4 v[20:23], v[60:61], off offset:3696
	global_load_dwordx4 v[32:35], v[60:61], off offset:3680
	v_accvgpr_write_b32 a28, v158
	ds_read_b128 v[156:159], v228 offset:6656
	ds_read_b128 v[132:135], v228 offset:6912
	;; [unrolled: 1-line block ×6, first 2 shown]
	global_load_dwordx4 v[28:31], v[60:61], off offset:3728
	global_load_dwordx4 v[36:39], v[60:61], off offset:3712
	s_mov_b64 s[2:3], 0x500
	ds_read_b128 v[164:167], v228 offset:5632
	ds_read_b128 v[144:147], v228 offset:5888
	ds_read_b128 v[180:183], v228 offset:1280
	ds_read_b128 v[84:87], v228 offset:1024
	ds_read_b128 v[160:163], v228 offset:2048
	ds_read_b128 v[140:143], v228 offset:2304
	ds_read_b128 v[184:187], v228 offset:3840
	ds_read_b128 v[136:139], v228 offset:3584
	global_load_dwordx4 v[44:47], v[60:61], off offset:3744
	v_lshl_add_u64 v[62:63], v[60:61], 0, s[2:3]
	global_load_dwordx4 v[48:51], v[62:63], off offset:3680
	ds_read_b128 v[188:191], v228 offset:4608
	ds_read_b128 v[168:171], v228 offset:4864
	global_load_dwordx4 v[40:43], v[62:63], off offset:3712
	global_load_dwordx4 v[56:59], v[62:63], off offset:3696
	ds_read_b128 v[192:195], v228 offset:6400
	ds_read_b128 v[176:179], v228 offset:6144
	ds_read_b128 v[196:199], v228 offset:7168
	ds_read_b128 v[172:175], v228 offset:7424
	global_load_dwordx4 v[52:55], v[62:63], off offset:3728
	s_mov_b64 s[2:3], 0xa00
	v_lshl_add_u64 v[200:201], v[60:61], 0, s[2:3]
	global_load_dwordx4 v[72:75], v[62:63], off offset:3744
	s_nop 0
	global_load_dwordx4 v[60:63], v[200:201], off offset:3728
	global_load_dwordx4 v[64:67], v[200:201], off offset:3712
	;; [unrolled: 1-line block ×4, first 2 shown]
	v_accvgpr_write_b32 a29, v208
	s_add_u32 s0, s8, 0x1e00
	s_addc_u32 s1, s9, 0
	s_mov_b32 s8, 0xe8584caa
	s_mov_b32 s9, 0x3febb67a
	;; [unrolled: 1-line block ×13, first 2 shown]
	s_waitcnt vmcnt(23) lgkmcnt(11)
	v_mul_f64 v[202:203], v[182:183], v[212:213]
	v_mul_f64 v[224:225], v[180:181], v[212:213]
	v_fma_f64 v[226:227], v[180:181], v[210:211], -v[202:203]
	s_waitcnt vmcnt(20)
	v_mul_f64 v[180:181], v[78:79], v[2:3]
	v_mul_f64 v[244:245], v[76:77], v[2:3]
	v_fma_f64 v[250:251], v[76:77], v[0:1], -v[180:181]
	v_fmac_f64_e32 v[244:245], v[78:79], v[0:1]
	global_load_dwordx4 v[76:79], v[200:201], off offset:3744
	v_mul_f64 v[204:205], v[154:155], v[10:11]
	v_mul_f64 v[236:237], v[152:153], v[10:11]
	v_fma_f64 v[246:247], v[152:153], v[8:9], -v[204:205]
	s_waitcnt vmcnt(20) lgkmcnt(3)
	v_mul_f64 v[152:153], v[194:195], v[220:221]
	v_accvgpr_write_b32 a4, v210
	v_fma_f64 v[252:253], v[192:193], v[218:219], -v[152:153]
	s_waitcnt vmcnt(19)
	v_mul_f64 v[152:153], v[118:119], v[18:19]
	v_accvgpr_write_b32 a5, v211
	v_accvgpr_write_b32 a6, v212
	;; [unrolled: 1-line block ×4, first 2 shown]
	v_fma_f64 v[152:153], v[116:117], v[16:17], -v[152:153]
	v_mul_f64 v[212:213], v[116:117], v[18:19]
	s_waitcnt vmcnt(17)
	v_mul_f64 v[116:117], v[114:115], v[14:15]
	v_mul_f64 v[206:207], v[186:187], v[6:7]
	v_mul_f64 v[238:239], v[184:185], v[6:7]
	v_accvgpr_write_b32 a137, v7
	v_accvgpr_write_b32 a132, v2
	;; [unrolled: 1-line block ×4, first 2 shown]
	v_fma_f64 v[0:1], v[112:113], v[12:13], -v[116:117]
	v_mul_f64 v[2:3], v[112:113], v[14:15]
	v_mul_f64 v[112:113], v[126:127], v[216:217]
	v_fma_f64 v[248:249], v[184:185], v[4:5], -v[206:207]
	v_accvgpr_write_b32 a136, v6
	v_accvgpr_write_b32 a135, v5
	;; [unrolled: 1-line block ×3, first 2 shown]
	v_fmac_f64_e32 v[238:239], v[186:187], v[4:5]
	v_fma_f64 v[4:5], v[124:125], v[214:215], -v[112:113]
	v_mul_f64 v[6:7], v[124:125], v[216:217]
	s_waitcnt vmcnt(16)
	v_mul_f64 v[112:113], v[106:107], v[234:235]
	v_accvgpr_write_b32 a0, v8
	v_fmac_f64_e32 v[6:7], v[126:127], v[214:215]
	v_fma_f64 v[124:125], v[104:105], v[232:233], -v[112:113]
	v_mul_f64 v[126:127], v[104:105], v[234:235]
	s_waitcnt vmcnt(15)
	v_mul_f64 v[104:105], v[158:159], v[26:27]
	v_accvgpr_write_b32 a1, v9
	v_accvgpr_write_b32 a2, v10
	v_accvgpr_write_b32 a3, v11
	v_fmac_f64_e32 v[236:237], v[154:155], v[8:9]
	v_fma_f64 v[8:9], v[156:157], v[24:25], -v[104:105]
	s_waitcnt vmcnt(13)
	v_mul_f64 v[104:105], v[110:111], v[34:35]
	v_accvgpr_write_b32 a8, v214
	v_mul_f64 v[10:11], v[156:157], v[26:27]
	v_fma_f64 v[156:157], v[108:109], v[32:33], -v[104:105]
	v_mul_f64 v[104:105], v[150:151], v[22:23]
	v_mul_f64 v[254:255], v[192:193], v[220:221]
	v_accvgpr_write_b32 a12, v218
	v_accvgpr_write_b32 a9, v215
	;; [unrolled: 1-line block ×4, first 2 shown]
	v_fma_f64 v[216:217], v[148:149], v[20:21], -v[104:105]
	s_waitcnt vmcnt(11)
	v_mul_f64 v[104:105], v[122:123], v[38:39]
	v_accvgpr_write_b32 a13, v219
	v_accvgpr_write_b32 a14, v220
	;; [unrolled: 1-line block ×3, first 2 shown]
	v_fmac_f64_e32 v[254:255], v[194:195], v[218:219]
	v_mul_f64 v[218:219], v[148:149], v[22:23]
	v_fma_f64 v[148:149], v[120:121], v[36:37], -v[104:105]
	v_mul_f64 v[104:105], v[166:167], v[30:31]
	v_fma_f64 v[220:221], v[164:165], v[28:29], -v[104:105]
	s_waitcnt vmcnt(10)
	v_mul_f64 v[104:105], v[134:135], v[46:47]
	v_fma_f64 v[154:155], v[132:133], v[44:45], -v[104:105]
	s_waitcnt vmcnt(9)
	v_mul_f64 v[104:105], v[162:163], v[50:51]
	v_fmac_f64_e32 v[224:225], v[182:183], v[210:211]
	v_fma_f64 v[182:183], v[160:161], v[48:49], -v[104:105]
	s_waitcnt vmcnt(7)
	v_mul_f64 v[104:105], v[130:131], v[58:59]
	v_fma_f64 v[204:205], v[128:129], v[56:57], -v[104:105]
	v_mul_f64 v[104:105], v[190:191], v[42:43]
	v_mul_f64 v[222:223], v[164:165], v[30:31]
	v_fma_f64 v[164:165], v[188:189], v[40:41], -v[104:105]
	s_waitcnt vmcnt(6)
	v_mul_f64 v[104:105], v[146:147], v[54:55]
	v_accvgpr_write_b32 a16, v232
	v_fma_f64 v[208:209], v[144:145], v[52:53], -v[104:105]
	s_waitcnt vmcnt(5) lgkmcnt(1)
	v_mul_f64 v[104:105], v[198:199], v[74:75]
	v_accvgpr_write_b32 a17, v233
	v_accvgpr_write_b32 a18, v234
	;; [unrolled: 1-line block ×3, first 2 shown]
	v_fma_f64 v[180:181], v[196:197], v[72:73], -v[104:105]
	v_mul_f64 v[234:235], v[196:197], v[74:75]
	s_waitcnt vmcnt(1)
	v_mul_f64 v[104:105], v[142:143], v[82:83]
	v_fmac_f64_e32 v[234:235], v[198:199], v[72:73]
	v_fma_f64 v[198:199], v[140:141], v[80:81], -v[104:105]
	v_mul_f64 v[104:105], v[138:139], v[70:71]
	v_fma_f64 v[192:193], v[136:137], v[68:69], -v[104:105]
	v_mul_f64 v[104:105], v[170:171], v[66:67]
	;; [unrolled: 2-line block ×3, first 2 shown]
	v_fma_f64 v[196:197], v[176:177], v[60:61], -v[104:105]
	s_waitcnt vmcnt(0) lgkmcnt(0)
	v_mul_f64 v[104:105], v[174:175], v[78:79]
	v_fmac_f64_e32 v[222:223], v[166:167], v[28:29]
	v_mul_f64 v[166:167], v[188:189], v[42:43]
	v_fma_f64 v[188:189], v[172:173], v[76:77], -v[104:105]
	v_add_f64 v[104:105], v[100:101], v[246:247]
	v_fmac_f64_e32 v[126:127], v[106:107], v[232:233]
	v_add_f64 v[106:107], v[104:105], v[250:251]
	v_add_f64 v[104:105], v[246:247], v[250:251]
	v_fmac_f64_e32 v[100:101], -0.5, v[104:105]
	v_add_f64 v[104:105], v[236:237], -v[244:245]
	v_fma_f64 v[116:117], s[8:9], v[104:105], v[100:101]
	v_fmac_f64_e32 v[100:101], s[2:3], v[104:105]
	v_add_f64 v[104:105], v[102:103], v[236:237]
	v_fmac_f64_e32 v[2:3], v[114:115], v[12:13]
	v_add_f64 v[114:115], v[104:105], v[244:245]
	v_add_f64 v[104:105], v[236:237], v[244:245]
	v_fmac_f64_e32 v[102:103], -0.5, v[104:105]
	v_add_f64 v[104:105], v[246:247], -v[250:251]
	v_fmac_f64_e32 v[212:213], v[118:119], v[16:17]
	v_fma_f64 v[118:119], s[2:3], v[104:105], v[102:103]
	v_fmac_f64_e32 v[102:103], s[8:9], v[104:105]
	v_add_f64 v[104:105], v[226:227], v[248:249]
	v_add_f64 v[112:113], v[104:105], v[252:253]
	v_add_f64 v[104:105], v[248:249], v[252:253]
	v_fmac_f64_e32 v[10:11], v[158:159], v[24:25]
	v_mul_f64 v[158:159], v[108:109], v[34:35]
	v_fmac_f64_e32 v[226:227], -0.5, v[104:105]
	v_add_f64 v[104:105], v[238:239], -v[254:255]
	v_fmac_f64_e32 v[158:159], v[110:111], v[32:33]
	v_fma_f64 v[110:111], s[8:9], v[104:105], v[226:227]
	v_fmac_f64_e32 v[226:227], s[2:3], v[104:105]
	v_add_f64 v[104:105], v[224:225], v[238:239]
	v_fmac_f64_e32 v[218:219], v[150:151], v[20:21]
	v_mul_f64 v[150:151], v[120:121], v[38:39]
	v_add_f64 v[120:121], v[104:105], v[254:255]
	v_add_f64 v[104:105], v[238:239], v[254:255]
	v_fmac_f64_e32 v[224:225], -0.5, v[104:105]
	v_add_f64 v[104:105], v[248:249], -v[252:253]
	v_fmac_f64_e32 v[150:151], v[122:123], v[36:37]
	v_fma_f64 v[122:123], s[2:3], v[104:105], v[224:225]
	v_mul_f64 v[206:207], v[128:129], v[58:59]
	v_mul_f64 v[128:129], v[122:123], s[8:9]
	;; [unrolled: 1-line block ×3, first 2 shown]
	v_fmac_f64_e32 v[224:225], s[8:9], v[104:105]
	v_fmac_f64_e32 v[128:129], 0.5, v[110:111]
	v_mul_f64 v[132:133], v[226:227], -0.5
	v_add_f64 v[104:105], v[116:117], v[128:129]
	v_fmac_f64_e32 v[132:133], s[8:9], v[224:225]
	v_add_f64 v[116:117], v[116:117], -v[128:129]
	v_add_f64 v[128:129], v[96:97], v[0:1]
	v_fmac_f64_e32 v[206:207], v[130:131], v[56:57]
	v_mul_f64 v[130:131], v[110:111], s[2:3]
	v_add_f64 v[110:111], v[114:115], v[120:121]
	v_add_f64 v[114:115], v[114:115], -v[120:121]
	v_add_f64 v[120:121], v[100:101], v[132:133]
	v_add_f64 v[100:101], v[100:101], -v[132:133]
	v_add_f64 v[132:133], v[128:129], v[124:125]
	v_add_f64 v[128:129], v[0:1], v[124:125]
	v_fmac_f64_e32 v[96:97], -0.5, v[128:129]
	v_add_f64 v[128:129], v[2:3], -v[126:127]
	v_mul_f64 v[194:195], v[136:137], v[70:71]
	v_fma_f64 v[136:137], s[8:9], v[128:129], v[96:97]
	v_fmac_f64_e32 v[96:97], s[2:3], v[128:129]
	v_add_f64 v[128:129], v[98:99], v[2:3]
	v_add_f64 v[2:3], v[2:3], v[126:127]
	v_fmac_f64_e32 v[214:215], v[134:135], v[44:45]
	v_mul_f64 v[134:135], v[224:225], -0.5
	v_fmac_f64_e32 v[98:99], -0.5, v[2:3]
	v_add_f64 v[0:1], v[0:1], -v[124:125]
	v_add_f64 v[124:125], v[4:5], v[8:9]
	v_fmac_f64_e32 v[134:135], s[2:3], v[226:227]
	v_fma_f64 v[2:3], s[2:3], v[0:1], v[98:99]
	v_fmac_f64_e32 v[98:99], s[8:9], v[0:1]
	v_add_f64 v[0:1], v[152:153], v[4:5]
	v_fmac_f64_e32 v[152:153], -0.5, v[124:125]
	v_add_f64 v[124:125], v[6:7], -v[10:11]
	v_fmac_f64_e32 v[130:131], 0.5, v[122:123]
	v_add_f64 v[122:123], v[102:103], v[134:135]
	v_add_f64 v[102:103], v[102:103], -v[134:135]
	v_add_f64 v[134:135], v[128:129], v[126:127]
	v_fma_f64 v[126:127], s[8:9], v[124:125], v[152:153]
	v_fmac_f64_e32 v[152:153], s[2:3], v[124:125]
	v_add_f64 v[124:125], v[212:213], v[6:7]
	v_add_f64 v[6:7], v[6:7], v[10:11]
	v_fmac_f64_e32 v[212:213], -0.5, v[6:7]
	v_add_f64 v[4:5], v[4:5], -v[8:9]
	v_add_f64 v[0:1], v[0:1], v[8:9]
	v_fma_f64 v[6:7], s[2:3], v[4:5], v[212:213]
	v_fmac_f64_e32 v[212:213], s[8:9], v[4:5]
	v_mul_f64 v[8:9], v[126:127], s[2:3]
	v_fmac_f64_e32 v[194:195], v[138:139], v[68:69]
	v_add_f64 v[138:139], v[124:125], v[10:11]
	v_add_f64 v[128:129], v[132:133], v[0:1]
	v_mul_f64 v[4:5], v[6:7], s[8:9]
	v_fmac_f64_e32 v[8:9], 0.5, v[6:7]
	v_mul_f64 v[6:7], v[152:153], -0.5
	v_add_f64 v[132:133], v[132:133], -v[0:1]
	v_mul_f64 v[0:1], v[212:213], -0.5
	v_mul_f64 v[200:201], v[140:141], v[82:83]
	v_add_f64 v[108:109], v[106:107], v[112:113]
	v_add_f64 v[112:113], v[106:107], -v[112:113]
	v_add_f64 v[106:107], v[118:119], v[130:131]
	v_add_f64 v[118:119], v[118:119], -v[130:131]
	v_fmac_f64_e32 v[4:5], 0.5, v[126:127]
	v_fmac_f64_e32 v[6:7], s[8:9], v[212:213]
	v_add_f64 v[130:131], v[134:135], v[138:139]
	v_add_f64 v[134:135], v[134:135], -v[138:139]
	v_add_f64 v[126:127], v[2:3], v[8:9]
	v_fmac_f64_e32 v[0:1], s[2:3], v[152:153]
	v_add_f64 v[138:139], v[2:3], -v[8:9]
	v_add_f64 v[2:3], v[216:217], v[220:221]
	v_fmac_f64_e32 v[200:201], v[142:143], v[80:81]
	v_add_f64 v[140:141], v[96:97], v[6:7]
	v_add_f64 v[142:143], v[98:99], v[0:1]
	v_add_f64 v[96:97], v[96:97], -v[6:7]
	v_add_f64 v[98:99], v[98:99], -v[0:1]
	v_add_f64 v[0:1], v[92:93], v[216:217]
	v_fmac_f64_e32 v[92:93], -0.5, v[2:3]
	v_add_f64 v[2:3], v[218:219], -v[222:223]
	v_add_f64 v[6:7], v[218:219], v[222:223]
	v_add_f64 v[124:125], v[136:137], v[4:5]
	v_add_f64 v[136:137], v[136:137], -v[4:5]
	v_fma_f64 v[4:5], s[8:9], v[2:3], v[92:93]
	v_fmac_f64_e32 v[92:93], s[2:3], v[2:3]
	v_add_f64 v[2:3], v[94:95], v[218:219]
	v_fmac_f64_e32 v[94:95], -0.5, v[6:7]
	v_add_f64 v[6:7], v[216:217], -v[220:221]
	v_add_f64 v[10:11], v[148:149], v[154:155]
	v_mul_f64 v[210:211], v[144:145], v[54:55]
	v_fma_f64 v[8:9], s[2:3], v[6:7], v[94:95]
	v_fmac_f64_e32 v[94:95], s[8:9], v[6:7]
	v_add_f64 v[6:7], v[156:157], v[148:149]
	v_fmac_f64_e32 v[156:157], -0.5, v[10:11]
	v_add_f64 v[10:11], v[150:151], -v[214:215]
	v_add_f64 v[144:145], v[150:151], v[214:215]
	v_fmac_f64_e32 v[210:211], v[146:147], v[52:53]
	v_fma_f64 v[146:147], s[8:9], v[10:11], v[156:157]
	v_fmac_f64_e32 v[156:157], s[2:3], v[10:11]
	v_add_f64 v[10:11], v[158:159], v[150:151]
	v_fmac_f64_e32 v[158:159], -0.5, v[144:145]
	v_add_f64 v[144:145], v[148:149], -v[154:155]
	v_mul_f64 v[186:187], v[168:169], v[66:67]
	v_add_f64 v[0:1], v[0:1], v[220:221]
	v_add_f64 v[6:7], v[6:7], v[154:155]
	v_fma_f64 v[150:151], s[2:3], v[144:145], v[158:159]
	v_fmac_f64_e32 v[158:159], s[8:9], v[144:145]
	v_fmac_f64_e32 v[186:187], v[170:171], v[64:65]
	v_add_f64 v[2:3], v[2:3], v[222:223]
	v_add_f64 v[10:11], v[10:11], v[214:215]
	;; [unrolled: 1-line block ×3, first 2 shown]
	v_mul_f64 v[170:171], v[146:147], s[2:3]
	v_add_f64 v[152:153], v[0:1], -v[6:7]
	v_mul_f64 v[0:1], v[158:159], -0.5
	v_mul_f64 v[232:233], v[160:161], v[50:51]
	v_mul_f64 v[168:169], v[150:151], s[8:9]
	v_fmac_f64_e32 v[170:171], 0.5, v[150:151]
	v_add_f64 v[150:151], v[2:3], v[10:11]
	v_add_f64 v[154:155], v[2:3], -v[10:11]
	v_fmac_f64_e32 v[0:1], s[2:3], v[156:157]
	v_add_f64 v[2:3], v[204:205], v[208:209]
	v_fmac_f64_e32 v[232:233], v[162:163], v[48:49]
	v_fmac_f64_e32 v[168:169], 0.5, v[146:147]
	v_add_f64 v[162:163], v[94:95], v[0:1]
	v_add_f64 v[94:95], v[94:95], -v[0:1]
	v_add_f64 v[0:1], v[88:89], v[204:205]
	v_fmac_f64_e32 v[88:89], -0.5, v[2:3]
	v_add_f64 v[2:3], v[206:207], -v[210:211]
	v_add_f64 v[6:7], v[206:207], v[210:211]
	v_fmac_f64_e32 v[166:167], v[190:191], v[40:41]
	v_mul_f64 v[190:191], v[172:173], v[78:79]
	v_add_f64 v[144:145], v[4:5], v[168:169]
	v_mul_f64 v[172:173], v[156:157], -0.5
	v_add_f64 v[156:157], v[4:5], -v[168:169]
	v_fma_f64 v[4:5], s[8:9], v[2:3], v[88:89]
	v_fmac_f64_e32 v[88:89], s[2:3], v[2:3]
	v_add_f64 v[2:3], v[90:91], v[206:207]
	v_fmac_f64_e32 v[90:91], -0.5, v[6:7]
	v_add_f64 v[6:7], v[204:205], -v[208:209]
	v_add_f64 v[10:11], v[164:165], v[180:181]
	v_fmac_f64_e32 v[172:173], s[8:9], v[158:159]
	v_add_f64 v[146:147], v[8:9], v[170:171]
	v_add_f64 v[158:159], v[8:9], -v[170:171]
	v_fma_f64 v[8:9], s[2:3], v[6:7], v[90:91]
	v_fmac_f64_e32 v[90:91], s[8:9], v[6:7]
	v_add_f64 v[6:7], v[182:183], v[164:165]
	v_fmac_f64_e32 v[182:183], -0.5, v[10:11]
	v_add_f64 v[10:11], v[166:167], -v[234:235]
	v_fma_f64 v[170:171], s[8:9], v[10:11], v[182:183]
	v_fmac_f64_e32 v[182:183], s[2:3], v[10:11]
	v_add_f64 v[10:11], v[232:233], v[166:167]
	v_add_f64 v[166:167], v[166:167], v[234:235]
	v_fmac_f64_e32 v[232:233], -0.5, v[166:167]
	v_add_f64 v[164:165], v[164:165], -v[180:181]
	v_add_f64 v[0:1], v[0:1], v[208:209]
	v_add_f64 v[6:7], v[6:7], v[180:181]
	v_fma_f64 v[166:167], s[2:3], v[164:165], v[232:233]
	v_fmac_f64_e32 v[232:233], s[8:9], v[164:165]
	v_mul_f64 v[202:203], v[176:177], v[62:63]
	v_add_f64 v[160:161], v[92:93], v[172:173]
	v_add_f64 v[92:93], v[92:93], -v[172:173]
	v_add_f64 v[2:3], v[2:3], v[210:211]
	v_add_f64 v[10:11], v[10:11], v[234:235]
	;; [unrolled: 1-line block ×3, first 2 shown]
	v_mul_f64 v[176:177], v[166:167], s[8:9]
	v_add_f64 v[172:173], v[0:1], -v[6:7]
	v_mul_f64 v[0:1], v[232:233], -0.5
	v_fmac_f64_e32 v[202:203], v[178:179], v[60:61]
	v_fmac_f64_e32 v[190:191], v[174:175], v[76:77]
	v_fmac_f64_e32 v[176:177], 0.5, v[170:171]
	v_mul_f64 v[178:179], v[170:171], s[2:3]
	v_add_f64 v[170:171], v[2:3], v[10:11]
	v_add_f64 v[174:175], v[2:3], -v[10:11]
	v_fmac_f64_e32 v[0:1], s[2:3], v[182:183]
	v_add_f64 v[2:3], v[192:193], v[196:197]
	v_mul_f64 v[204:205], v[182:183], -0.5
	v_add_f64 v[182:183], v[90:91], v[0:1]
	v_add_f64 v[90:91], v[90:91], -v[0:1]
	v_add_f64 v[0:1], v[84:85], v[192:193]
	v_fmac_f64_e32 v[84:85], -0.5, v[2:3]
	v_add_f64 v[2:3], v[194:195], -v[202:203]
	v_add_f64 v[6:7], v[194:195], v[202:203]
	v_add_f64 v[164:165], v[4:5], v[176:177]
	v_fmac_f64_e32 v[178:179], 0.5, v[166:167]
	v_add_f64 v[176:177], v[4:5], -v[176:177]
	v_fma_f64 v[4:5], s[8:9], v[2:3], v[84:85]
	v_fmac_f64_e32 v[84:85], s[2:3], v[2:3]
	v_add_f64 v[2:3], v[86:87], v[194:195]
	v_fmac_f64_e32 v[86:87], -0.5, v[6:7]
	v_add_f64 v[6:7], v[192:193], -v[196:197]
	v_add_f64 v[10:11], v[184:185], v[188:189]
	v_add_f64 v[166:167], v[8:9], v[178:179]
	v_add_f64 v[178:179], v[8:9], -v[178:179]
	v_fma_f64 v[8:9], s[2:3], v[6:7], v[86:87]
	v_fmac_f64_e32 v[86:87], s[8:9], v[6:7]
	v_add_f64 v[6:7], v[198:199], v[184:185]
	v_fmac_f64_e32 v[198:199], -0.5, v[10:11]
	v_add_f64 v[10:11], v[186:187], -v[190:191]
	v_fma_f64 v[192:193], s[8:9], v[10:11], v[198:199]
	v_fmac_f64_e32 v[198:199], s[2:3], v[10:11]
	v_add_f64 v[10:11], v[200:201], v[186:187]
	v_add_f64 v[186:187], v[186:187], v[190:191]
	v_fmac_f64_e32 v[200:201], -0.5, v[186:187]
	v_add_f64 v[184:185], v[184:185], -v[188:189]
	v_fma_f64 v[186:187], s[2:3], v[184:185], v[200:201]
	v_fmac_f64_e32 v[204:205], s[8:9], v[232:233]
	v_add_f64 v[0:1], v[0:1], v[196:197]
	v_add_f64 v[2:3], v[2:3], v[202:203]
	;; [unrolled: 1-line block ×3, first 2 shown]
	v_fmac_f64_e32 v[200:201], s[8:9], v[184:185]
	v_mul_f64 v[202:203], v[186:187], s[8:9]
	v_add_f64 v[180:181], v[88:89], v[204:205]
	v_add_f64 v[88:89], v[88:89], -v[204:205]
	v_add_f64 v[10:11], v[10:11], v[190:191]
	v_add_f64 v[188:189], v[0:1], v[6:7]
	v_fmac_f64_e32 v[202:203], 0.5, v[192:193]
	v_mul_f64 v[204:205], v[192:193], s[2:3]
	v_mul_f64 v[206:207], v[198:199], -0.5
	v_add_f64 v[192:193], v[0:1], -v[6:7]
	v_mul_f64 v[0:1], v[200:201], -0.5
	v_accvgpr_read_b32 v222, a29
	v_fmac_f64_e32 v[204:205], 0.5, v[186:187]
	v_fmac_f64_e32 v[206:207], s[8:9], v[200:201]
	v_add_f64 v[190:191], v[2:3], v[10:11]
	v_add_f64 v[194:195], v[2:3], -v[10:11]
	v_fmac_f64_e32 v[0:1], s[2:3], v[198:199]
	v_accvgpr_read_b32 v2, a124
	v_add_f64 v[184:185], v[4:5], v[202:203]
	v_add_f64 v[196:197], v[84:85], v[206:207]
	;; [unrolled: 1-line block ×4, first 2 shown]
	v_add_f64 v[200:201], v[4:5], -v[202:203]
	v_add_f64 v[84:85], v[84:85], -v[206:207]
	;; [unrolled: 1-line block ×4, first 2 shown]
	ds_write_b128 v222, v[108:111]
	ds_write_b128 v228, v[104:107] offset:1280
	ds_write_b128 v228, v[120:123] offset:2560
	ds_write_b128 v228, v[112:115] offset:3840
	ds_write_b128 v228, v[116:119] offset:5120
	ds_write_b128 v228, v[100:103] offset:6400
	ds_write_b128 v228, v[128:131] offset:256
	ds_write_b128 v228, v[124:127] offset:1536
	ds_write_b128 v228, v[140:143] offset:2816
	ds_write_b128 v228, v[132:135] offset:4096
	ds_write_b128 v228, v[136:139] offset:5376
	ds_write_b128 v228, v[96:99] offset:6656
	ds_write_b128 v228, v[148:151] offset:512
	ds_write_b128 v228, v[144:147] offset:1792
	ds_write_b128 v228, v[160:163] offset:3072
	ds_write_b128 v228, v[152:155] offset:4352
	ds_write_b128 v228, v[156:159] offset:5632
	ds_write_b128 v228, v[92:95] offset:6912
	ds_write_b128 v228, v[168:171] offset:768
	ds_write_b128 v228, v[164:167] offset:2048
	ds_write_b128 v228, v[180:183] offset:3328
	ds_write_b128 v228, v[172:175] offset:4608
	ds_write_b128 v228, v[176:179] offset:5888
	ds_write_b128 v228, v[88:91] offset:7168
	ds_write_b128 v228, v[188:191] offset:1024
	ds_write_b128 v228, v[184:187] offset:2304
	ds_write_b128 v228, v[196:199] offset:3584
	ds_write_b128 v228, v[192:195] offset:4864
	ds_write_b128 v228, v[200:203] offset:6144
	ds_write_b128 v228, v[84:87] offset:7424
	s_waitcnt lgkmcnt(0)
	; wave barrier
	s_waitcnt lgkmcnt(0)
	global_load_dwordx4 v[124:127], v2, s[0:1]
	global_load_dwordx4 v[116:119], v2, s[0:1] offset:768
	global_load_dwordx4 v[120:123], v2, s[0:1] offset:1536
	;; [unrolled: 1-line block ×5, first 2 shown]
	scratch_load_dword v0, off, off offset:24 ; 4-byte Folded Reload
	s_waitcnt vmcnt(0)
	global_load_dwordx4 v[92:95], v0, s[0:1]
	s_nop 0
	scratch_load_dword v0, off, off offset:28 ; 4-byte Folded Reload
	s_waitcnt vmcnt(0)
	global_load_dwordx4 v[112:115], v0, s[0:1]
	s_nop 0
	scratch_load_dword v0, off, off offset:32 ; 4-byte Folded Reload
	ds_read_b128 v[128:131], v222
	s_mov_b32 s8, 0x372fe950
	s_mov_b32 s3, 0x3fe2cf23
	;; [unrolled: 1-line block ×4, first 2 shown]
	s_waitcnt lgkmcnt(0)
	v_mul_f64 v[134:135], v[128:129], v[126:127]
	v_fmac_f64_e32 v[134:135], v[130:131], v[124:125]
	s_mov_b32 s16, s8
	s_waitcnt vmcnt(0)
	global_load_dwordx4 v[84:87], v0, s[0:1]
	s_nop 0
	scratch_load_dword v0, off, off offset:20 ; 4-byte Folded Reload
	s_waitcnt vmcnt(0)
	global_load_dwordx4 v[100:103], v0, s[0:1]
	global_load_dwordx4 v[96:99], v2, s[0:1] offset:256
	v_mul_f64 v[0:1], v[130:131], v[126:127]
	v_fma_f64 v[132:133], v[128:129], v[124:125], -v[0:1]
	ds_write_b128 v222, v[132:135]
	ds_read_b128 v[132:135], v228 offset:768
	ds_read_b128 v[124:127], v228 offset:1024
	;; [unrolled: 1-line block ×3, first 2 shown]
	global_load_dwordx4 v[128:131], v2, s[0:1] offset:512
	global_load_dwordx4 v[148:151], v2, s[0:1] offset:1024
	s_waitcnt lgkmcnt(2)
	v_mul_f64 v[0:1], v[134:135], v[118:119]
	v_mul_f64 v[138:139], v[132:133], v[118:119]
	v_fma_f64 v[136:137], v[132:133], v[116:117], -v[0:1]
	v_fmac_f64_e32 v[138:139], v[134:135], v[116:117]
	ds_read_b128 v[116:119], v228 offset:1280
	s_waitcnt lgkmcnt(1)
	v_mul_f64 v[0:1], v[142:143], v[122:123]
	v_mul_f64 v[134:135], v[140:141], v[122:123]
	v_fma_f64 v[132:133], v[140:141], v[120:121], -v[0:1]
	v_fmac_f64_e32 v[134:135], v[142:143], v[120:121]
	ds_write_b128 v228, v[136:139] offset:768
	ds_read_b128 v[140:143], v228 offset:2304
	ds_write_b128 v228, v[132:135] offset:1536
	ds_read_b128 v[132:135], v228 offset:2560
	global_load_dwordx4 v[144:147], v2, s[0:1] offset:1792
	global_load_dwordx4 v[136:139], v2, s[0:1] offset:2560
	;; [unrolled: 1-line block ×3, first 2 shown]
	ds_read_b128 v[156:159], v228 offset:3072
	s_waitcnt lgkmcnt(3)
	v_mul_f64 v[0:1], v[142:143], v[106:107]
	v_mul_f64 v[154:155], v[140:141], v[106:107]
	v_fma_f64 v[152:153], v[140:141], v[104:105], -v[0:1]
	v_fmac_f64_e32 v[154:155], v[142:143], v[104:105]
	ds_read_b128 v[104:107], v228 offset:2816
	s_waitcnt lgkmcnt(1)
	v_mul_f64 v[0:1], v[158:159], v[110:111]
	v_fma_f64 v[160:161], v[156:157], v[108:109], -v[0:1]
	scratch_load_dword v0, off, off offset:4 ; 4-byte Folded Reload
	ds_read_b128 v[164:167], v228 offset:3840
	v_mul_f64 v[162:163], v[156:157], v[110:111]
	ds_write_b128 v228, v[152:155] offset:2304
	v_fmac_f64_e32 v[162:163], v[158:159], v[108:109]
	ds_read_b128 v[156:159], v228 offset:4096
	global_load_dwordx4 v[188:191], v2, s[0:1] offset:1280
	ds_write_b128 v228, v[160:163] offset:3072
	global_load_dwordx4 v[140:143], v2, s[0:1] offset:3328
	ds_read_b128 v[172:175], v228 offset:4608
	s_waitcnt lgkmcnt(4)
	v_mul_f64 v[162:163], v[164:165], v[90:91]
	v_fmac_f64_e32 v[162:163], v[166:167], v[88:89]
	global_load_dwordx4 v[108:111], v2, s[0:1] offset:3584
	ds_read_b128 v[176:179], v228 offset:5376
	ds_read_b128 v[184:187], v228 offset:6144
	ds_read_b128 v[192:195], v228 offset:3328
	s_waitcnt vmcnt(3)
	global_load_dwordx4 v[152:155], v0, s[0:1]
	v_mul_f64 v[0:1], v[166:167], v[90:91]
	v_fma_f64 v[160:161], v[164:165], v[88:89], -v[0:1]
	scratch_load_dword v0, off, off offset:12 ; 4-byte Folded Reload
	ds_write_b128 v228, v[160:163] offset:3840
	ds_read_b128 v[88:91], v228 offset:4352
	s_waitcnt lgkmcnt(5)
	v_mul_f64 v[166:167], v[172:173], v[94:95]
	v_fmac_f64_e32 v[166:167], v[174:175], v[92:93]
	s_waitcnt vmcnt(0)
	global_load_dwordx4 v[168:171], v0, s[0:1]
	s_nop 0
	scratch_load_dword v0, off, off offset:16 ; 4-byte Folded Reload
	s_waitcnt vmcnt(0)
	global_load_dwordx4 v[160:163], v0, s[0:1]
	v_mul_f64 v[0:1], v[174:175], v[94:95]
	v_fma_f64 v[164:165], v[172:173], v[92:93], -v[0:1]
	scratch_load_dword v0, off, off         ; 4-byte Folded Reload
	ds_write_b128 v228, v[164:167] offset:4608
	ds_read_b128 v[164:167], v228 offset:5632
	s_waitcnt lgkmcnt(6)
	v_mul_f64 v[174:175], v[176:177], v[114:115]
	v_fmac_f64_e32 v[174:175], v[178:179], v[112:113]
	s_waitcnt vmcnt(0)
	global_load_dwordx4 v[92:95], v0, s[0:1]
	v_mul_f64 v[0:1], v[178:179], v[114:115]
	v_fma_f64 v[172:173], v[176:177], v[112:113], -v[0:1]
	scratch_load_dword v0, off, off offset:8 ; 4-byte Folded Reload
	ds_read_b128 v[176:179], v228 offset:6912
	ds_write_b128 v228, v[172:175] offset:5376
	ds_read_b128 v[112:115], v228 offset:5888
	s_waitcnt lgkmcnt(8)
	v_mul_f64 v[174:175], v[184:185], v[86:87]
	v_fmac_f64_e32 v[174:175], v[186:187], v[84:85]
	s_waitcnt vmcnt(0)
	global_load_dwordx4 v[180:183], v0, s[0:1]
	v_mul_f64 v[0:1], v[186:187], v[86:87]
	v_fma_f64 v[172:173], v[184:185], v[84:85], -v[0:1]
	ds_read_b128 v[84:87], v228 offset:7168
	ds_read_b128 v[184:187], v228 offset:256
	ds_write_b128 v228, v[172:175] offset:6144
	s_waitcnt lgkmcnt(5)
	v_mul_f64 v[0:1], v[178:179], v[102:103]
	v_mul_f64 v[174:175], v[176:177], v[102:103]
	v_fma_f64 v[172:173], v[176:177], v[100:101], -v[0:1]
	v_fmac_f64_e32 v[174:175], v[178:179], v[100:101]
	ds_write_b128 v228, v[172:175] offset:6912
	ds_read_b128 v[172:175], v228 offset:512
	s_waitcnt lgkmcnt(3)
	v_mul_f64 v[0:1], v[186:187], v[98:99]
	v_fma_f64 v[176:177], v[184:185], v[96:97], -v[0:1]
	v_mul_f64 v[178:179], v[184:185], v[98:99]
	v_mul_f64 v[0:1], v[126:127], v[150:151]
	v_fmac_f64_e32 v[178:179], v[186:187], v[96:97]
	v_fma_f64 v[96:97], v[124:125], v[148:149], -v[0:1]
	scratch_load_dword v0, off, off offset:104 ; 4-byte Folded Reload
	global_load_dwordx4 v[100:103], v2, s[0:1] offset:2816
	ds_write_b128 v228, v[176:179] offset:256
	ds_read_b128 v[184:187], v228 offset:1792
	v_mul_f64 v[98:99], v[124:125], v[150:151]
	v_fmac_f64_e32 v[98:99], v[126:127], v[148:149]
	ds_write_b128 v228, v[96:99] offset:1024
	ds_read_b128 v[96:99], v228 offset:2048
	s_waitcnt lgkmcnt(2)
	v_mul_f64 v[150:151], v[184:185], v[146:147]
	v_fmac_f64_e32 v[150:151], v[186:187], v[144:145]
	s_waitcnt vmcnt(1)
	global_load_dwordx4 v[176:179], v0, s[0:1]
	s_nop 0
	scratch_load_dword v0, off, off offset:124 ; 4-byte Folded Reload
	v_accvgpr_read_b32 v2, a138
	s_waitcnt vmcnt(0)
	global_load_dwordx4 v[124:127], v0, s[0:1]
	v_mul_f64 v[0:1], v[186:187], v[146:147]
	v_fma_f64 v[148:149], v[184:185], v[144:145], -v[0:1]
	v_accvgpr_read_b32 v0, a125
	global_load_dwordx4 v[144:147], v0, s[0:1]
	v_mul_f64 v[0:1], v[134:135], v[138:139]
	ds_write_b128 v228, v[148:151] offset:1792
	v_fma_f64 v[148:149], v[132:133], v[136:137], -v[0:1]
	scratch_load_dword v0, off, off offset:36 ; 4-byte Folded Reload
	v_mul_f64 v[150:151], v[132:133], v[138:139]
	v_fmac_f64_e32 v[150:151], v[134:135], v[136:137]
	global_load_dwordx4 v[136:139], v2, s[0:1]
	ds_write_b128 v228, v[148:151] offset:2560
	ds_read_b128 v[132:135], v228 offset:3584
	v_mul_f64 v[150:151], v[192:193], v[142:143]
	v_fmac_f64_e32 v[150:151], v[194:195], v[140:141]
	s_waitcnt vmcnt(1)
	global_load_dwordx4 v[184:187], v0, s[0:1]
	v_mul_f64 v[0:1], v[194:195], v[142:143]
	v_fma_f64 v[148:149], v[192:193], v[140:141], -v[0:1]
	ds_write_b128 v228, v[148:151] offset:3328
	ds_read_b128 v[148:151], v228 offset:4864
	v_mul_f64 v[0:1], v[158:159], v[154:155]
	v_mul_f64 v[142:143], v[156:157], v[154:155]
	v_fma_f64 v[140:141], v[156:157], v[152:153], -v[0:1]
	v_fmac_f64_e32 v[142:143], v[158:159], v[152:153]
	ds_write_b128 v228, v[140:143] offset:4096
	ds_read_b128 v[140:143], v228 offset:5120
	s_waitcnt lgkmcnt(2)
	v_mul_f64 v[0:1], v[150:151], v[170:171]
	v_mul_f64 v[154:155], v[148:149], v[170:171]
	v_fma_f64 v[152:153], v[148:149], v[168:169], -v[0:1]
	v_fmac_f64_e32 v[154:155], v[150:151], v[168:169]
	ds_write_b128 v228, v[152:155] offset:4864
	ds_read_b128 v[152:155], v228 offset:6400
	v_mul_f64 v[0:1], v[166:167], v[162:163]
	v_mul_f64 v[150:151], v[164:165], v[162:163]
	v_fma_f64 v[148:149], v[164:165], v[160:161], -v[0:1]
	v_fmac_f64_e32 v[150:151], v[166:167], v[160:161]
	ds_write_b128 v228, v[148:151] offset:5632
	ds_read_b128 v[148:151], v228 offset:6656
	s_waitcnt lgkmcnt(2)
	v_mul_f64 v[0:1], v[154:155], v[94:95]
	v_fma_f64 v[156:157], v[152:153], v[92:93], -v[0:1]
	v_mul_f64 v[158:159], v[152:153], v[94:95]
	v_mul_f64 v[0:1], v[86:87], v[182:183]
	;; [unrolled: 1-line block ×3, first 2 shown]
	v_fmac_f64_e32 v[158:159], v[154:155], v[92:93]
	v_fma_f64 v[92:93], v[84:85], v[180:181], -v[0:1]
	v_fmac_f64_e32 v[94:95], v[86:87], v[180:181]
	v_mul_f64 v[0:1], v[174:175], v[130:131]
	v_mul_f64 v[86:87], v[172:173], v[130:131]
	v_fma_f64 v[84:85], v[172:173], v[128:129], -v[0:1]
	v_fmac_f64_e32 v[86:87], v[174:175], v[128:129]
	ds_write_b128 v228, v[84:87] offset:512
	v_mul_f64 v[0:1], v[118:119], v[190:191]
	v_mul_f64 v[86:87], v[116:117], v[190:191]
	v_fma_f64 v[84:85], v[116:117], v[188:189], -v[0:1]
	v_fmac_f64_e32 v[86:87], v[118:119], v[188:189]
	ds_write_b128 v228, v[84:87] offset:1280
	;; [unrolled: 5-line block ×8, first 2 shown]
	ds_read_b128 v[84:87], v228 offset:7424
	ds_write_b128 v228, v[156:159] offset:6400
	ds_write_b128 v228, v[92:95] offset:7168
	s_mov_b32 s1, 0x3fee6f0e
	s_mov_b32 s0, s10
	s_waitcnt vmcnt(0) lgkmcnt(11)
	v_mul_f64 v[0:1], v[150:151], v[186:187]
	v_mul_f64 v[90:91], v[148:149], v[186:187]
	v_fma_f64 v[88:89], v[148:149], v[184:185], -v[0:1]
	v_fmac_f64_e32 v[90:91], v[150:151], v[184:185]
	ds_write_b128 v228, v[88:91] offset:6656
	s_waitcnt lgkmcnt(3)
	v_mul_f64 v[0:1], v[86:87], v[138:139]
	v_mul_f64 v[90:91], v[84:85], v[138:139]
	v_fma_f64 v[88:89], v[84:85], v[136:137], -v[0:1]
	v_fmac_f64_e32 v[90:91], v[86:87], v[136:137]
	ds_write_b128 v228, v[88:91] offset:7424
	s_waitcnt lgkmcnt(0)
	; wave barrier
	s_waitcnt lgkmcnt(0)
	ds_read_b128 v[140:143], v222
	ds_read_b128 v[112:115], v228 offset:256
	ds_read_b128 v[120:123], v228 offset:1536
	;; [unrolled: 1-line block ×29, first 2 shown]
	s_waitcnt lgkmcnt(14)
	v_add_f64 v[0:1], v[140:141], v[120:121]
	v_add_f64 v[0:1], v[0:1], v[128:129]
	;; [unrolled: 1-line block ×5, first 2 shown]
	v_fma_f64 v[84:85], -0.5, v[0:1], v[140:141]
	v_add_f64 v[0:1], v[122:123], -v[150:151]
	v_fma_f64 v[2:3], s[10:11], v[0:1], v[84:85]
	v_add_f64 v[4:5], v[130:131], -v[138:139]
	v_add_f64 v[6:7], v[120:121], -v[128:129]
	;; [unrolled: 1-line block ×3, first 2 shown]
	v_fmac_f64_e32 v[84:85], s[0:1], v[0:1]
	v_fmac_f64_e32 v[2:3], s[14:15], v[4:5]
	v_add_f64 v[6:7], v[6:7], v[8:9]
	v_fmac_f64_e32 v[84:85], s[2:3], v[4:5]
	v_fmac_f64_e32 v[2:3], s[8:9], v[6:7]
	;; [unrolled: 1-line block ×3, first 2 shown]
	v_add_f64 v[6:7], v[120:121], v[148:149]
	v_fmac_f64_e32 v[140:141], -0.5, v[6:7]
	v_fma_f64 v[6:7], s[0:1], v[4:5], v[140:141]
	v_add_f64 v[8:9], v[128:129], -v[120:121]
	v_add_f64 v[10:11], v[136:137], -v[148:149]
	v_fmac_f64_e32 v[140:141], s[10:11], v[4:5]
	v_fmac_f64_e32 v[6:7], s[14:15], v[0:1]
	v_add_f64 v[8:9], v[8:9], v[10:11]
	v_fmac_f64_e32 v[140:141], s[2:3], v[0:1]
	v_add_f64 v[4:5], v[130:131], v[138:139]
	v_fmac_f64_e32 v[6:7], s[8:9], v[8:9]
	v_fmac_f64_e32 v[140:141], s[8:9], v[8:9]
	v_fma_f64 v[4:5], -0.5, v[4:5], v[142:143]
	v_add_f64 v[8:9], v[120:121], -v[148:149]
	v_fma_f64 v[10:11], s[0:1], v[8:9], v[4:5]
	v_add_f64 v[120:121], v[128:129], -v[136:137]
	v_add_f64 v[128:129], v[122:123], -v[130:131]
	;; [unrolled: 1-line block ×3, first 2 shown]
	v_fmac_f64_e32 v[4:5], s[10:11], v[8:9]
	v_fmac_f64_e32 v[10:11], s[2:3], v[120:121]
	v_add_f64 v[128:129], v[128:129], v[136:137]
	v_fmac_f64_e32 v[4:5], s[14:15], v[120:121]
	v_fmac_f64_e32 v[10:11], s[8:9], v[128:129]
	;; [unrolled: 1-line block ×3, first 2 shown]
	v_add_f64 v[128:129], v[122:123], v[150:151]
	v_add_f64 v[0:1], v[142:143], v[122:123]
	v_fmac_f64_e32 v[142:143], -0.5, v[128:129]
	v_fma_f64 v[204:205], s[10:11], v[120:121], v[142:143]
	v_add_f64 v[122:123], v[130:131], -v[122:123]
	v_add_f64 v[128:129], v[138:139], -v[150:151]
	v_fmac_f64_e32 v[142:143], s[0:1], v[120:121]
	s_waitcnt lgkmcnt(7)
	v_add_f64 v[120:121], v[152:153], v[156:157]
	v_fmac_f64_e32 v[204:205], s[2:3], v[8:9]
	v_add_f64 v[122:123], v[122:123], v[128:129]
	v_fmac_f64_e32 v[142:143], s[14:15], v[8:9]
	v_fma_f64 v[148:149], -0.5, v[120:121], v[144:145]
	s_waitcnt lgkmcnt(3)
	v_add_f64 v[120:121], v[134:135], -v[190:191]
	v_add_f64 v[0:1], v[0:1], v[130:131]
	v_fmac_f64_e32 v[204:205], s[8:9], v[122:123]
	v_fmac_f64_e32 v[142:143], s[8:9], v[122:123]
	v_fma_f64 v[122:123], s[10:11], v[120:121], v[148:149]
	v_add_f64 v[128:129], v[154:155], -v[158:159]
	v_add_f64 v[130:131], v[132:133], -v[152:153]
	;; [unrolled: 1-line block ×3, first 2 shown]
	v_fmac_f64_e32 v[148:149], s[0:1], v[120:121]
	v_fmac_f64_e32 v[122:123], s[14:15], v[128:129]
	v_add_f64 v[130:131], v[130:131], v[136:137]
	v_fmac_f64_e32 v[148:149], s[2:3], v[128:129]
	v_fmac_f64_e32 v[122:123], s[8:9], v[130:131]
	;; [unrolled: 1-line block ×3, first 2 shown]
	v_add_f64 v[130:131], v[132:133], v[188:189]
	v_add_f64 v[8:9], v[144:145], v[132:133]
	v_fmac_f64_e32 v[144:145], -0.5, v[130:131]
	v_add_f64 v[0:1], v[0:1], v[138:139]
	v_fma_f64 v[138:139], s[0:1], v[128:129], v[144:145]
	v_fmac_f64_e32 v[144:145], s[10:11], v[128:129]
	v_fmac_f64_e32 v[138:139], s[14:15], v[120:121]
	;; [unrolled: 1-line block ×3, first 2 shown]
	v_add_f64 v[120:121], v[146:147], v[134:135]
	v_add_f64 v[120:121], v[120:121], v[154:155]
	;; [unrolled: 1-line block ×4, first 2 shown]
	v_add_f64 v[130:131], v[152:153], -v[132:133]
	v_add_f64 v[136:137], v[156:157], -v[188:189]
	v_add_f64 v[150:151], v[120:121], v[190:191]
	v_add_f64 v[120:121], v[154:155], v[158:159]
	;; [unrolled: 1-line block ×3, first 2 shown]
	v_fma_f64 v[206:207], -0.5, v[120:121], v[146:147]
	v_add_f64 v[120:121], v[132:133], -v[188:189]
	v_fmac_f64_e32 v[138:139], s[8:9], v[130:131]
	v_fmac_f64_e32 v[144:145], s[8:9], v[130:131]
	v_fma_f64 v[130:131], s[0:1], v[120:121], v[206:207]
	v_add_f64 v[128:129], v[152:153], -v[156:157]
	v_add_f64 v[132:133], v[134:135], -v[154:155]
	;; [unrolled: 1-line block ×3, first 2 shown]
	v_fmac_f64_e32 v[206:207], s[10:11], v[120:121]
	v_fmac_f64_e32 v[130:131], s[2:3], v[128:129]
	v_add_f64 v[132:133], v[132:133], v[136:137]
	v_fmac_f64_e32 v[206:207], s[14:15], v[128:129]
	v_fmac_f64_e32 v[130:131], s[8:9], v[132:133]
	v_fmac_f64_e32 v[206:207], s[8:9], v[132:133]
	v_add_f64 v[132:133], v[134:135], v[190:191]
	v_fmac_f64_e32 v[146:147], -0.5, v[132:133]
	v_add_f64 v[8:9], v[8:9], v[152:153]
	v_fma_f64 v[152:153], s[10:11], v[128:129], v[146:147]
	v_add_f64 v[132:133], v[154:155], -v[134:135]
	v_add_f64 v[134:135], v[158:159], -v[190:191]
	v_fmac_f64_e32 v[146:147], s[0:1], v[128:129]
	v_add_f64 v[132:133], v[132:133], v[134:135]
	v_fmac_f64_e32 v[146:147], s[14:15], v[120:121]
	v_fmac_f64_e32 v[152:153], s[2:3], v[120:121]
	;; [unrolled: 1-line block ×3, first 2 shown]
	v_mul_f64 v[154:155], v[130:131], s[14:15]
	v_fmac_f64_e32 v[152:153], s[8:9], v[132:133]
	v_fmac_f64_e32 v[154:155], s[18:19], v[122:123]
	v_mul_f64 v[208:209], v[146:147], s[10:11]
	v_mul_f64 v[210:211], v[206:207], s[14:15]
	;; [unrolled: 1-line block ×4, first 2 shown]
	v_add_f64 v[8:9], v[8:9], v[156:157]
	v_add_f64 v[128:129], v[2:3], v[154:155]
	v_mul_f64 v[158:159], v[152:153], s[10:11]
	v_mul_f64 v[212:213], v[122:123], s[2:3]
	;; [unrolled: 1-line block ×3, first 2 shown]
	v_fmac_f64_e32 v[146:147], s[0:1], v[144:145]
	v_fmac_f64_e32 v[206:207], s[2:3], v[148:149]
	v_add_f64 v[152:153], v[2:3], -v[154:155]
	v_add_f64 v[2:3], v[172:173], v[176:177]
	v_add_f64 v[8:9], v[8:9], v[188:189]
	v_fmac_f64_e32 v[158:159], s[8:9], v[138:139]
	v_fmac_f64_e32 v[208:209], s[16:17], v[144:145]
	;; [unrolled: 1-line block ×5, first 2 shown]
	v_add_f64 v[138:139], v[142:143], v[146:147]
	v_add_f64 v[190:191], v[4:5], v[206:207]
	v_add_f64 v[146:147], v[142:143], -v[146:147]
	v_add_f64 v[142:143], v[4:5], -v[206:207]
	v_fma_f64 v[2:3], -0.5, v[2:3], v[112:113]
	v_add_f64 v[4:5], v[166:167], -v[194:195]
	v_add_f64 v[120:121], v[94:95], v[8:9]
	v_add_f64 v[132:133], v[6:7], v[158:159]
	;; [unrolled: 1-line block ×5, first 2 shown]
	v_add_f64 v[156:157], v[94:95], -v[8:9]
	v_add_f64 v[148:149], v[6:7], -v[158:159]
	;; [unrolled: 1-line block ×5, first 2 shown]
	v_fma_f64 v[6:7], s[10:11], v[4:5], v[2:3]
	v_add_f64 v[8:9], v[174:175], -v[178:179]
	v_add_f64 v[10:11], v[164:165], -v[172:173]
	;; [unrolled: 1-line block ×3, first 2 shown]
	v_fmac_f64_e32 v[2:3], s[0:1], v[4:5]
	v_fmac_f64_e32 v[6:7], s[14:15], v[8:9]
	v_add_f64 v[10:11], v[10:11], v[84:85]
	v_fmac_f64_e32 v[2:3], s[2:3], v[8:9]
	v_fmac_f64_e32 v[6:7], s[8:9], v[10:11]
	;; [unrolled: 1-line block ×3, first 2 shown]
	v_add_f64 v[10:11], v[164:165], v[192:193]
	v_add_f64 v[122:123], v[0:1], v[150:151]
	v_add_f64 v[158:159], v[0:1], -v[150:151]
	v_add_f64 v[0:1], v[112:113], v[164:165]
	v_fmac_f64_e32 v[112:113], -0.5, v[10:11]
	v_fma_f64 v[10:11], s[0:1], v[8:9], v[112:113]
	v_add_f64 v[84:85], v[172:173], -v[164:165]
	v_add_f64 v[94:95], v[176:177], -v[192:193]
	v_fmac_f64_e32 v[112:113], s[10:11], v[8:9]
	v_fmac_f64_e32 v[10:11], s[14:15], v[4:5]
	v_add_f64 v[84:85], v[84:85], v[94:95]
	v_fmac_f64_e32 v[112:113], s[2:3], v[4:5]
	v_add_f64 v[8:9], v[174:175], v[178:179]
	v_add_f64 v[0:1], v[0:1], v[172:173]
	v_fmac_f64_e32 v[10:11], s[8:9], v[84:85]
	v_fmac_f64_e32 v[112:113], s[8:9], v[84:85]
	v_fma_f64 v[8:9], -0.5, v[8:9], v[114:115]
	v_add_f64 v[84:85], v[164:165], -v[192:193]
	v_add_f64 v[0:1], v[0:1], v[176:177]
	v_fma_f64 v[94:95], s[0:1], v[84:85], v[8:9]
	v_add_f64 v[164:165], v[172:173], -v[176:177]
	v_add_f64 v[172:173], v[166:167], -v[174:175]
	;; [unrolled: 1-line block ×3, first 2 shown]
	v_fmac_f64_e32 v[8:9], s[10:11], v[84:85]
	v_fmac_f64_e32 v[94:95], s[2:3], v[164:165]
	v_add_f64 v[172:173], v[172:173], v[176:177]
	v_fmac_f64_e32 v[8:9], s[14:15], v[164:165]
	v_fmac_f64_e32 v[94:95], s[8:9], v[172:173]
	;; [unrolled: 1-line block ×3, first 2 shown]
	v_add_f64 v[172:173], v[166:167], v[194:195]
	v_add_f64 v[4:5], v[114:115], v[166:167]
	v_fmac_f64_e32 v[114:115], -0.5, v[172:173]
	v_add_f64 v[134:135], v[204:205], v[214:215]
	v_add_f64 v[150:151], v[204:205], -v[214:215]
	v_fma_f64 v[204:205], s[10:11], v[164:165], v[114:115]
	v_add_f64 v[166:167], v[174:175], -v[166:167]
	v_add_f64 v[172:173], v[178:179], -v[194:195]
	v_fmac_f64_e32 v[114:115], s[0:1], v[164:165]
	v_add_f64 v[164:165], v[184:185], v[196:197]
	v_add_f64 v[0:1], v[0:1], v[192:193]
	v_fmac_f64_e32 v[204:205], s[2:3], v[84:85]
	v_add_f64 v[166:167], v[166:167], v[172:173]
	v_fmac_f64_e32 v[114:115], s[14:15], v[84:85]
	v_fma_f64 v[192:193], -0.5, v[164:165], v[160:161]
	s_waitcnt lgkmcnt(1)
	v_add_f64 v[164:165], v[170:171], -v[202:203]
	v_add_f64 v[4:5], v[4:5], v[174:175]
	v_fmac_f64_e32 v[204:205], s[8:9], v[166:167]
	v_fmac_f64_e32 v[114:115], s[8:9], v[166:167]
	v_fma_f64 v[166:167], s[10:11], v[164:165], v[192:193]
	v_add_f64 v[172:173], v[186:187], -v[198:199]
	v_add_f64 v[174:175], v[168:169], -v[184:185]
	;; [unrolled: 1-line block ×3, first 2 shown]
	v_fmac_f64_e32 v[192:193], s[0:1], v[164:165]
	v_fmac_f64_e32 v[166:167], s[14:15], v[172:173]
	v_add_f64 v[174:175], v[174:175], v[176:177]
	v_fmac_f64_e32 v[192:193], s[2:3], v[172:173]
	v_fmac_f64_e32 v[166:167], s[8:9], v[174:175]
	;; [unrolled: 1-line block ×3, first 2 shown]
	v_add_f64 v[174:175], v[168:169], v[200:201]
	v_add_f64 v[84:85], v[160:161], v[168:169]
	v_fmac_f64_e32 v[160:161], -0.5, v[174:175]
	v_fma_f64 v[174:175], s[0:1], v[172:173], v[160:161]
	v_fmac_f64_e32 v[160:161], s[10:11], v[172:173]
	v_fmac_f64_e32 v[174:175], s[14:15], v[164:165]
	;; [unrolled: 1-line block ×3, first 2 shown]
	v_add_f64 v[164:165], v[162:163], v[170:171]
	v_add_f64 v[164:165], v[164:165], v[186:187]
	;; [unrolled: 1-line block ×5, first 2 shown]
	v_add_f64 v[176:177], v[184:185], -v[168:169]
	v_add_f64 v[178:179], v[196:197], -v[200:201]
	v_add_f64 v[194:195], v[164:165], v[202:203]
	v_add_f64 v[164:165], v[186:187], v[198:199]
	;; [unrolled: 1-line block ×3, first 2 shown]
	v_fma_f64 v[206:207], -0.5, v[164:165], v[162:163]
	v_add_f64 v[164:165], v[168:169], -v[200:201]
	v_fmac_f64_e32 v[174:175], s[8:9], v[176:177]
	v_fmac_f64_e32 v[160:161], s[8:9], v[176:177]
	v_fma_f64 v[178:179], s[0:1], v[164:165], v[206:207]
	v_add_f64 v[168:169], v[184:185], -v[196:197]
	v_add_f64 v[172:173], v[170:171], -v[186:187]
	;; [unrolled: 1-line block ×3, first 2 shown]
	v_fmac_f64_e32 v[206:207], s[10:11], v[164:165]
	v_fmac_f64_e32 v[178:179], s[2:3], v[168:169]
	v_add_f64 v[172:173], v[172:173], v[176:177]
	v_fmac_f64_e32 v[206:207], s[14:15], v[168:169]
	v_add_f64 v[84:85], v[84:85], v[184:185]
	v_fmac_f64_e32 v[178:179], s[8:9], v[172:173]
	v_fmac_f64_e32 v[206:207], s[8:9], v[172:173]
	v_add_f64 v[172:173], v[170:171], v[202:203]
	v_add_f64 v[84:85], v[84:85], v[196:197]
	v_fmac_f64_e32 v[162:163], -0.5, v[172:173]
	v_add_f64 v[84:85], v[84:85], v[200:201]
	v_fma_f64 v[196:197], s[10:11], v[168:169], v[162:163]
	v_add_f64 v[170:171], v[186:187], -v[170:171]
	v_add_f64 v[172:173], v[198:199], -v[202:203]
	v_fmac_f64_e32 v[162:163], s[0:1], v[168:169]
	v_fmac_f64_e32 v[196:197], s[2:3], v[164:165]
	v_add_f64 v[170:171], v[170:171], v[172:173]
	v_fmac_f64_e32 v[162:163], s[14:15], v[164:165]
	v_add_f64 v[164:165], v[0:1], v[84:85]
	v_add_f64 v[200:201], v[0:1], -v[84:85]
	v_add_f64 v[0:1], v[96:97], v[116:117]
	v_fmac_f64_e32 v[196:197], s[8:9], v[170:171]
	v_mul_f64 v[198:199], v[178:179], s[14:15]
	v_mul_f64 v[212:213], v[166:167], s[2:3]
	v_add_f64 v[0:1], v[0:1], v[124:125]
	v_fmac_f64_e32 v[162:163], s[8:9], v[170:171]
	v_fmac_f64_e32 v[198:199], s[18:19], v[166:167]
	v_mul_f64 v[202:203], v[196:197], s[10:11]
	v_fmac_f64_e32 v[212:213], s[18:19], v[178:179]
	v_mul_f64 v[214:215], v[196:197], s[8:9]
	v_add_f64 v[0:1], v[0:1], v[180:181]
	v_add_f64 v[168:169], v[6:7], v[198:199]
	v_fmac_f64_e32 v[202:203], s[8:9], v[174:175]
	v_mul_f64 v[208:209], v[162:163], s[10:11]
	v_mul_f64 v[210:211], v[206:207], s[14:15]
	v_add_f64 v[170:171], v[94:95], v[212:213]
	v_fmac_f64_e32 v[214:215], s[0:1], v[174:175]
	v_mul_f64 v[206:207], v[206:207], s[20:21]
	v_add_f64 v[196:197], v[6:7], -v[198:199]
	v_add_f64 v[198:199], v[94:95], -v[212:213]
	v_add_f64 v[94:95], v[0:1], v[232:233]
	v_add_f64 v[0:1], v[124:125], v[180:181]
	;; [unrolled: 1-line block ×3, first 2 shown]
	v_fmac_f64_e32 v[208:209], s[16:17], v[160:161]
	v_fmac_f64_e32 v[210:211], s[20:21], v[192:193]
	v_add_f64 v[166:167], v[4:5], v[194:195]
	v_add_f64 v[174:175], v[204:205], v[214:215]
	v_mul_f64 v[162:163], v[162:163], s[16:17]
	v_fmac_f64_e32 v[206:207], s[2:3], v[192:193]
	v_add_f64 v[192:193], v[10:11], -v[202:203]
	v_add_f64 v[202:203], v[4:5], -v[194:195]
	;; [unrolled: 1-line block ×3, first 2 shown]
	v_fma_f64 v[204:205], -0.5, v[0:1], v[96:97]
	v_add_f64 v[0:1], v[118:119], -v[234:235]
	v_add_f64 v[176:177], v[112:113], v[208:209]
	v_add_f64 v[184:185], v[2:3], v[210:211]
	v_fmac_f64_e32 v[162:163], s[0:1], v[160:161]
	v_add_f64 v[160:161], v[112:113], -v[208:209]
	v_add_f64 v[112:113], v[2:3], -v[210:211]
	v_fma_f64 v[208:209], s[10:11], v[0:1], v[204:205]
	v_add_f64 v[2:3], v[126:127], -v[182:183]
	v_add_f64 v[4:5], v[116:117], -v[124:125]
	;; [unrolled: 1-line block ×3, first 2 shown]
	v_fmac_f64_e32 v[204:205], s[0:1], v[0:1]
	v_fmac_f64_e32 v[208:209], s[14:15], v[2:3]
	v_add_f64 v[4:5], v[4:5], v[6:7]
	v_fmac_f64_e32 v[204:205], s[2:3], v[2:3]
	v_fmac_f64_e32 v[208:209], s[8:9], v[4:5]
	;; [unrolled: 1-line block ×3, first 2 shown]
	v_add_f64 v[4:5], v[116:117], v[232:233]
	v_fmac_f64_e32 v[96:97], -0.5, v[4:5]
	v_add_f64 v[178:179], v[114:115], v[162:163]
	v_add_f64 v[186:187], v[8:9], v[206:207]
	v_add_f64 v[162:163], v[114:115], -v[162:163]
	v_add_f64 v[114:115], v[8:9], -v[206:207]
	v_fma_f64 v[4:5], s[0:1], v[2:3], v[96:97]
	v_add_f64 v[6:7], v[124:125], -v[116:117]
	v_add_f64 v[8:9], v[180:181], -v[232:233]
	v_fmac_f64_e32 v[96:97], s[10:11], v[2:3]
	v_add_f64 v[2:3], v[126:127], v[182:183]
	v_fmac_f64_e32 v[4:5], s[14:15], v[0:1]
	v_add_f64 v[6:7], v[6:7], v[8:9]
	v_fmac_f64_e32 v[96:97], s[2:3], v[0:1]
	v_fma_f64 v[206:207], -0.5, v[2:3], v[98:99]
	v_add_f64 v[2:3], v[116:117], -v[232:233]
	v_fmac_f64_e32 v[4:5], s[8:9], v[6:7]
	v_fmac_f64_e32 v[96:97], s[8:9], v[6:7]
	v_fma_f64 v[6:7], s[0:1], v[2:3], v[206:207]
	v_add_f64 v[8:9], v[124:125], -v[180:181]
	v_add_f64 v[10:11], v[118:119], -v[126:127]
	;; [unrolled: 1-line block ×3, first 2 shown]
	v_fmac_f64_e32 v[206:207], s[10:11], v[2:3]
	v_fmac_f64_e32 v[6:7], s[2:3], v[8:9]
	v_add_f64 v[10:11], v[10:11], v[84:85]
	v_fmac_f64_e32 v[206:207], s[14:15], v[8:9]
	v_fmac_f64_e32 v[6:7], s[8:9], v[10:11]
	;; [unrolled: 1-line block ×3, first 2 shown]
	v_add_f64 v[10:11], v[118:119], v[234:235]
	v_add_f64 v[0:1], v[98:99], v[118:119]
	v_fmac_f64_e32 v[98:99], -0.5, v[10:11]
	v_fma_f64 v[10:11], s[10:11], v[8:9], v[98:99]
	v_add_f64 v[84:85], v[126:127], -v[118:119]
	v_add_f64 v[116:117], v[182:183], -v[234:235]
	v_fmac_f64_e32 v[98:99], s[0:1], v[8:9]
	v_fmac_f64_e32 v[10:11], s[2:3], v[2:3]
	v_add_f64 v[84:85], v[84:85], v[116:117]
	v_fmac_f64_e32 v[98:99], s[14:15], v[2:3]
	v_add_f64 v[8:9], v[100:101], v[104:105]
	v_fmac_f64_e32 v[10:11], s[8:9], v[84:85]
	v_fmac_f64_e32 v[98:99], s[8:9], v[84:85]
	v_fma_f64 v[8:9], -0.5, v[8:9], v[86:87]
	s_waitcnt lgkmcnt(0)
	v_add_f64 v[84:85], v[92:93], -v[110:111]
	v_add_f64 v[0:1], v[0:1], v[126:127]
	v_fma_f64 v[118:119], s[10:11], v[84:85], v[8:9]
	v_add_f64 v[116:117], v[102:103], -v[106:107]
	v_add_f64 v[124:125], v[90:91], -v[100:101]
	;; [unrolled: 1-line block ×3, first 2 shown]
	v_fmac_f64_e32 v[8:9], s[0:1], v[84:85]
	v_fmac_f64_e32 v[118:119], s[14:15], v[116:117]
	v_add_f64 v[124:125], v[124:125], v[126:127]
	v_fmac_f64_e32 v[8:9], s[2:3], v[116:117]
	v_fmac_f64_e32 v[118:119], s[8:9], v[124:125]
	;; [unrolled: 1-line block ×3, first 2 shown]
	v_add_f64 v[124:125], v[90:91], v[108:109]
	v_add_f64 v[2:3], v[86:87], v[90:91]
	v_fmac_f64_e32 v[86:87], -0.5, v[124:125]
	v_fma_f64 v[126:127], s[0:1], v[116:117], v[86:87]
	v_fmac_f64_e32 v[86:87], s[10:11], v[116:117]
	v_fmac_f64_e32 v[126:127], s[14:15], v[84:85]
	;; [unrolled: 1-line block ×3, first 2 shown]
	v_add_f64 v[84:85], v[88:89], v[92:93]
	v_add_f64 v[84:85], v[84:85], v[102:103]
	;; [unrolled: 1-line block ×7, first 2 shown]
	v_fma_f64 v[212:213], -0.5, v[84:85], v[88:89]
	v_add_f64 v[84:85], v[90:91], -v[108:109]
	v_add_f64 v[2:3], v[2:3], v[108:109]
	v_add_f64 v[124:125], v[100:101], -v[90:91]
	v_add_f64 v[180:181], v[104:105], -v[108:109]
	v_fma_f64 v[90:91], s[0:1], v[84:85], v[212:213]
	v_add_f64 v[100:101], v[100:101], -v[104:105]
	v_add_f64 v[104:105], v[92:93], -v[102:103]
	;; [unrolled: 1-line block ×3, first 2 shown]
	v_fmac_f64_e32 v[212:213], s[10:11], v[84:85]
	v_fmac_f64_e32 v[90:91], s[2:3], v[100:101]
	v_add_f64 v[104:105], v[104:105], v[108:109]
	v_fmac_f64_e32 v[212:213], s[14:15], v[100:101]
	v_fmac_f64_e32 v[90:91], s[8:9], v[104:105]
	;; [unrolled: 1-line block ×3, first 2 shown]
	v_add_f64 v[104:105], v[92:93], v[110:111]
	v_fmac_f64_e32 v[88:89], -0.5, v[104:105]
	v_fma_f64 v[104:105], s[10:11], v[100:101], v[88:89]
	v_add_f64 v[92:93], v[102:103], -v[92:93]
	v_add_f64 v[102:103], v[106:107], -v[110:111]
	v_fmac_f64_e32 v[88:89], s[0:1], v[100:101]
	v_fmac_f64_e32 v[104:105], s[2:3], v[84:85]
	v_add_f64 v[92:93], v[92:93], v[102:103]
	v_fmac_f64_e32 v[88:89], s[14:15], v[84:85]
	v_add_f64 v[124:125], v[124:125], v[180:181]
	v_fmac_f64_e32 v[104:105], s[8:9], v[92:93]
	v_fmac_f64_e32 v[88:89], s[8:9], v[92:93]
	v_add_f64 v[0:1], v[0:1], v[182:183]
	v_fmac_f64_e32 v[126:127], s[8:9], v[124:125]
	v_fmac_f64_e32 v[86:87], s[8:9], v[124:125]
	v_mul_f64 v[100:101], v[90:91], s[14:15]
	v_mul_f64 v[102:103], v[104:105], s[10:11]
	;; [unrolled: 1-line block ×6, first 2 shown]
	v_add_f64 v[0:1], v[0:1], v[234:235]
	v_fmac_f64_e32 v[100:101], s[18:19], v[118:119]
	v_fmac_f64_e32 v[102:103], s[8:9], v[126:127]
	;; [unrolled: 1-line block ×3, first 2 shown]
	v_mul_f64 v[214:215], v[212:213], s[14:15]
	v_fmac_f64_e32 v[216:217], s[18:19], v[90:91]
	v_fmac_f64_e32 v[218:219], s[0:1], v[126:127]
	;; [unrolled: 1-line block ×3, first 2 shown]
	v_mul_f64 v[212:213], v[212:213], s[20:21]
	v_add_f64 v[108:109], v[94:95], v[2:3]
	v_add_f64 v[116:117], v[208:209], v[100:101]
	;; [unrolled: 1-line block ×4, first 2 shown]
	v_fmac_f64_e32 v[214:215], s[20:21], v[8:9]
	v_add_f64 v[110:111], v[0:1], v[210:211]
	v_add_f64 v[118:119], v[6:7], v[216:217]
	;; [unrolled: 1-line block ×4, first 2 shown]
	v_fmac_f64_e32 v[212:213], s[2:3], v[8:9]
	v_add_f64 v[84:85], v[204:205], v[214:215]
	v_add_f64 v[86:87], v[206:207], v[212:213]
	v_add_f64 v[92:93], v[94:95], -v[2:3]
	v_add_f64 v[88:89], v[208:209], -v[100:101]
	;; [unrolled: 1-line block ×10, first 2 shown]
	s_waitcnt lgkmcnt(0)
	; wave barrier
	ds_write_b128 v230, v[120:123]
	ds_write_b128 v230, v[128:131] offset:16
	ds_write_b128 v230, v[132:135] offset:32
	ds_write_b128 v230, v[136:139] offset:48
	ds_write_b128 v230, v[188:191] offset:64
	ds_write_b128 v230, v[156:159] offset:80
	ds_write_b128 v230, v[152:155] offset:96
	ds_write_b128 v230, v[148:151] offset:112
	ds_write_b128 v230, v[144:147] offset:128
	ds_write_b128 v230, v[140:143] offset:144
	ds_write_b128 v229, v[164:167]
	ds_write_b128 v229, v[168:171] offset:16
	ds_write_b128 v229, v[172:175] offset:32
	ds_write_b128 v229, v[176:179] offset:48
	ds_write_b128 v229, v[184:187] offset:64
	ds_write_b128 v229, v[200:203] offset:80
	ds_write_b128 v229, v[196:199] offset:96
	ds_write_b128 v229, v[192:195] offset:112
	ds_write_b128 v229, v[160:163] offset:128
	ds_write_b128 v229, v[112:115] offset:144
	;; [unrolled: 10-line block ×3, first 2 shown]
	s_waitcnt lgkmcnt(0)
	; wave barrier
	s_waitcnt lgkmcnt(0)
	ds_read_b128 v[116:119], v222
	ds_read_b128 v[112:115], v228 offset:256
	ds_read_b128 v[188:191], v228 offset:1920
	;; [unrolled: 1-line block ×23, first 2 shown]
	s_and_saveexec_b64 s[0:1], vcc
	s_cbranch_execz .LBB0_7
; %bb.6:
	ds_read_b128 v[84:87], v228 offset:768
	ds_read_b128 v[92:95], v228 offset:1728
	;; [unrolled: 1-line block ×8, first 2 shown]
.LBB0_7:
	s_or_b64 exec, exec, s[0:1]
	v_accvgpr_read_b32 v4, a174
	v_accvgpr_read_b32 v6, a176
	;; [unrolled: 1-line block ×5, first 2 shown]
	s_waitcnt lgkmcnt(14)
	v_mul_f64 v[0:1], v[6:7], v[202:203]
	v_mul_f64 v[2:3], v[6:7], v[200:201]
	v_accvgpr_read_b32 v10, a172
	v_accvgpr_read_b32 v11, a173
	v_fmac_f64_e32 v[0:1], v[4:5], v[200:201]
	v_fma_f64 v[2:3], v[4:5], v[202:203], -v[2:3]
	v_accvgpr_read_b32 v9, a171
	v_mul_f64 v[4:5], v[10:11], v[190:191]
	v_mul_f64 v[6:7], v[10:11], v[188:189]
	v_fmac_f64_e32 v[4:5], v[8:9], v[188:189]
	v_fma_f64 v[6:7], v[8:9], v[190:191], -v[6:7]
	v_accvgpr_read_b32 v191, a169
	v_accvgpr_read_b32 v190, a168
	v_accvgpr_read_b32 v189, a167
	v_accvgpr_read_b32 v188, a166
	s_waitcnt lgkmcnt(11)
	v_mul_f64 v[8:9], v[190:191], v[198:199]
	v_mul_f64 v[10:11], v[190:191], v[196:197]
	v_fmac_f64_e32 v[8:9], v[188:189], v[196:197]
	v_fma_f64 v[10:11], v[188:189], v[198:199], -v[10:11]
	v_accvgpr_read_b32 v199, a165
	v_accvgpr_read_b32 v198, a164
	;; [unrolled: 1-line block ×4, first 2 shown]
	v_mul_f64 v[188:189], v[198:199], v[182:183]
	v_fmac_f64_e32 v[188:189], v[196:197], v[180:181]
	v_mul_f64 v[180:181], v[198:199], v[180:181]
	v_fma_f64 v[180:181], v[196:197], v[182:183], -v[180:181]
	v_accvgpr_read_b32 v199, a185
	v_accvgpr_read_b32 v198, a184
	;; [unrolled: 1-line block ×4, first 2 shown]
	s_waitcnt lgkmcnt(7)
	v_mul_f64 v[182:183], v[198:199], v[194:195]
	v_mul_f64 v[190:191], v[198:199], v[192:193]
	v_fmac_f64_e32 v[182:183], v[196:197], v[192:193]
	v_fma_f64 v[190:191], v[196:197], v[194:195], -v[190:191]
	v_accvgpr_read_b32 v197, a181
	v_accvgpr_read_b32 v196, a180
	;; [unrolled: 1-line block ×4, first 2 shown]
	v_mul_f64 v[192:193], v[196:197], v[178:179]
	v_fmac_f64_e32 v[192:193], v[194:195], v[176:177]
	v_mul_f64 v[176:177], v[196:197], v[176:177]
	v_fma_f64 v[176:177], v[194:195], v[178:179], -v[176:177]
	v_accvgpr_read_b32 v197, a189
	v_accvgpr_read_b32 v196, a188
	v_accvgpr_read_b32 v195, a187
	v_accvgpr_read_b32 v194, a186
	s_waitcnt lgkmcnt(3)
	v_mul_f64 v[178:179], v[196:197], v[186:187]
	v_fmac_f64_e32 v[178:179], v[194:195], v[184:185]
	v_mul_f64 v[184:185], v[196:197], v[184:185]
	v_fma_f64 v[184:185], v[194:195], v[186:187], -v[184:185]
	v_accvgpr_read_b32 v194, a206
	v_accvgpr_read_b32 v196, a208
	v_accvgpr_read_b32 v197, a209
	v_accvgpr_read_b32 v195, a207
	v_mul_f64 v[186:187], v[196:197], v[174:175]
	v_fmac_f64_e32 v[186:187], v[194:195], v[172:173]
	v_mul_f64 v[172:173], v[196:197], v[172:173]
	v_fma_f64 v[172:173], v[194:195], v[174:175], -v[172:173]
	v_accvgpr_read_b32 v194, a198
	v_accvgpr_read_b32 v196, a200
	v_accvgpr_read_b32 v197, a201
	v_accvgpr_read_b32 v195, a199
	;; [unrolled: 8-line block ×7, first 2 shown]
	s_waitcnt lgkmcnt(1)
	v_mul_f64 v[150:151], v[196:197], v[158:159]
	v_fmac_f64_e32 v[150:151], v[194:195], v[156:157]
	v_mul_f64 v[156:157], v[196:197], v[156:157]
	v_accvgpr_read_b32 v196, a234
	v_accvgpr_read_b32 v198, a236
	;; [unrolled: 1-line block ×3, first 2 shown]
	v_fma_f64 v[156:157], v[194:195], v[158:159], -v[156:157]
	v_accvgpr_read_b32 v197, a235
	v_mul_f64 v[194:195], v[198:199], v[146:147]
	v_fmac_f64_e32 v[194:195], v[196:197], v[144:145]
	v_mul_f64 v[144:145], v[198:199], v[144:145]
	v_fma_f64 v[196:197], v[196:197], v[146:147], -v[144:145]
	v_accvgpr_read_b32 v144, a230
	v_accvgpr_read_b32 v146, a232
	v_accvgpr_read_b32 v147, a233
	v_accvgpr_read_b32 v145, a231
	v_mul_f64 v[198:199], v[146:147], v[142:143]
	v_fmac_f64_e32 v[198:199], v[144:145], v[140:141]
	v_mul_f64 v[140:141], v[146:147], v[140:141]
	v_fma_f64 v[200:201], v[144:145], v[142:143], -v[140:141]
	v_accvgpr_read_b32 v140, a226
	v_accvgpr_read_b32 v142, a228
	v_accvgpr_read_b32 v143, a229
	;; [unrolled: 8-line block ×6, first 2 shown]
	v_accvgpr_read_b32 v125, a251
	s_waitcnt lgkmcnt(0)
	v_mul_f64 v[218:219], v[126:127], v[122:123]
	v_fmac_f64_e32 v[218:219], v[124:125], v[120:121]
	v_mul_f64 v[120:121], v[126:127], v[120:121]
	v_fma_f64 v[220:221], v[124:125], v[122:123], -v[120:121]
	v_add_f64 v[122:123], v[118:119], -v[180:181]
	v_add_f64 v[124:125], v[4:5], -v[192:193]
	v_add_f64 v[130:131], v[2:3], -v[190:191]
	v_add_f64 v[132:133], v[8:9], -v[178:179]
	v_add_f64 v[120:121], v[116:117], -v[188:189]
	v_add_f64 v[126:127], v[6:7], -v[176:177]
	v_add_f64 v[128:129], v[0:1], -v[182:183]
	v_add_f64 v[134:135], v[10:11], -v[184:185]
	v_add_f64 v[146:147], v[122:123], -v[124:125]
	v_add_f64 v[176:177], v[130:131], -v[132:133]
	s_mov_b32 s0, 0x667f3bcd
	v_fma_f64 v[118:119], v[118:119], 2.0, -v[122:123]
	v_fma_f64 v[6:7], v[6:7], 2.0, -v[126:127]
	;; [unrolled: 1-line block ×4, first 2 shown]
	v_add_f64 v[144:145], v[120:121], v[126:127]
	v_fma_f64 v[142:143], v[122:123], 2.0, -v[146:147]
	v_add_f64 v[158:159], v[128:129], v[134:135]
	v_fma_f64 v[130:131], v[130:131], 2.0, -v[176:177]
	s_mov_b32 s1, 0xbfe6a09e
	v_fma_f64 v[116:117], v[116:117], 2.0, -v[120:121]
	v_fma_f64 v[4:5], v[4:5], 2.0, -v[124:125]
	;; [unrolled: 1-line block ×4, first 2 shown]
	v_add_f64 v[6:7], v[118:119], -v[6:7]
	v_fma_f64 v[140:141], v[120:121], 2.0, -v[144:145]
	v_add_f64 v[10:11], v[2:3], -v[10:11]
	v_fma_f64 v[128:129], v[128:129], 2.0, -v[158:159]
	v_fma_f64 v[122:123], s[0:1], v[130:131], v[142:143]
	v_add_f64 v[4:5], v[116:117], -v[4:5]
	v_fma_f64 v[138:139], v[118:119], 2.0, -v[6:7]
	v_add_f64 v[8:9], v[0:1], -v[8:9]
	v_fma_f64 v[2:3], v[2:3], 2.0, -v[10:11]
	v_fma_f64 v[120:121], s[0:1], v[128:129], v[140:141]
	s_mov_b32 s3, 0x3fe6a09e
	s_mov_b32 s2, s0
	v_fmac_f64_e32 v[122:123], s[0:1], v[128:129]
	v_fma_f64 v[136:137], v[116:117], 2.0, -v[4:5]
	v_fma_f64 v[0:1], v[0:1], 2.0, -v[8:9]
	v_add_f64 v[118:119], v[138:139], -v[2:3]
	v_fmac_f64_e32 v[120:121], s[2:3], v[130:131]
	v_fma_f64 v[130:131], v[142:143], 2.0, -v[122:123]
	v_add_f64 v[132:133], v[4:5], v[10:11]
	v_add_f64 v[134:135], v[6:7], -v[8:9]
	v_fma_f64 v[142:143], s[2:3], v[176:177], v[146:147]
	v_add_f64 v[2:3], v[114:115], -v[152:153]
	v_add_f64 v[10:11], v[160:161], -v[148:149]
	;; [unrolled: 1-line block ×7, first 2 shown]
	v_fma_f64 v[126:127], v[138:139], 2.0, -v[118:119]
	v_fma_f64 v[128:129], v[140:141], 2.0, -v[120:121]
	v_fma_f64 v[138:139], v[6:7], 2.0, -v[134:135]
	v_fma_f64 v[140:141], s[2:3], v[158:159], v[144:145]
	v_fmac_f64_e32 v[142:143], s[0:1], v[158:159]
	v_add_f64 v[0:1], v[112:113], -v[170:171]
	v_fma_f64 v[6:7], v[114:115], 2.0, -v[2:3]
	v_add_f64 v[8:9], v[174:175], -v[166:167]
	v_fma_f64 v[114:115], v[160:161], 2.0, -v[10:11]
	v_fma_f64 v[154:155], v[186:187], 2.0, -v[148:149]
	;; [unrolled: 1-line block ×9, first 2 shown]
	v_add_f64 v[10:11], v[0:1], v[10:11]
	v_add_f64 v[8:9], v[2:3], -v[8:9]
	v_add_f64 v[168:169], v[154:155], -v[160:161]
	;; [unrolled: 1-line block ×3, first 2 shown]
	v_add_f64 v[172:173], v[148:149], v[156:157]
	v_add_f64 v[174:175], v[152:153], -v[150:151]
	v_add_f64 v[166:167], v[6:7], -v[114:115]
	v_fma_f64 v[0:1], v[0:1], 2.0, -v[10:11]
	v_fma_f64 v[2:3], v[2:3], 2.0, -v[8:9]
	;; [unrolled: 1-line block ×5, first 2 shown]
	v_add_f64 v[164:165], v[4:5], -v[112:113]
	v_fma_f64 v[112:113], v[154:155], 2.0, -v[168:169]
	v_fma_f64 v[152:153], s[0:1], v[156:157], v[0:1]
	v_fma_f64 v[154:155], s[0:1], v[158:159], v[2:3]
	v_add_f64 v[162:163], v[166:167], -v[168:169]
	v_fma_f64 v[168:169], s[2:3], v[172:173], v[10:11]
	v_fma_f64 v[6:7], v[6:7], 2.0, -v[166:167]
	v_fmac_f64_e32 v[152:153], s[2:3], v[158:159]
	v_fmac_f64_e32 v[154:155], s[0:1], v[156:157]
	v_fma_f64 v[170:171], s[2:3], v[174:175], v[8:9]
	v_fmac_f64_e32 v[168:169], s[2:3], v[174:175]
	v_fmac_f64_e32 v[140:141], s[2:3], v[176:177]
	v_fma_f64 v[4:5], v[4:5], 2.0, -v[164:165]
	v_add_f64 v[114:115], v[6:7], -v[114:115]
	v_fma_f64 v[156:157], v[0:1], 2.0, -v[152:153]
	v_fma_f64 v[158:159], v[2:3], 2.0, -v[154:155]
	v_fmac_f64_e32 v[170:171], s[0:1], v[172:173]
	v_fma_f64 v[172:173], v[10:11], 2.0, -v[168:169]
	v_add_f64 v[0:1], v[108:109], -v[206:207]
	v_add_f64 v[2:3], v[110:111], -v[208:209]
	;; [unrolled: 1-line block ×7, first 2 shown]
	v_fma_f64 v[150:151], v[6:7], 2.0, -v[114:115]
	v_fma_f64 v[174:175], v[8:9], 2.0, -v[170:171]
	v_fma_f64 v[6:7], v[110:111], 2.0, -v[2:3]
	v_add_f64 v[8:9], v[198:199], -v[214:215]
	v_fma_f64 v[110:111], v[200:201], 2.0, -v[10:11]
	v_add_f64 v[178:179], v[196:197], -v[212:213]
	v_fma_f64 v[180:181], v[194:195], 2.0, -v[176:177]
	v_fma_f64 v[188:189], v[202:203], 2.0, -v[184:185]
	v_add_f64 v[10:11], v[0:1], v[10:11]
	v_add_f64 v[200:201], v[176:177], v[186:187]
	v_fma_f64 v[148:149], v[4:5], 2.0, -v[112:113]
	v_fma_f64 v[4:5], v[108:109], 2.0, -v[0:1]
	;; [unrolled: 1-line block ×5, first 2 shown]
	v_add_f64 v[8:9], v[2:3], -v[8:9]
	v_fma_f64 v[0:1], v[0:1], 2.0, -v[10:11]
	v_add_f64 v[196:197], v[180:181], -v[188:189]
	v_add_f64 v[202:203], v[178:179], -v[184:185]
	v_fma_f64 v[184:185], v[176:177], 2.0, -v[200:201]
	v_add_f64 v[192:193], v[4:5], -v[108:109]
	v_fma_f64 v[2:3], v[2:3], 2.0, -v[8:9]
	;; [unrolled: 2-line block ×3, first 2 shown]
	v_fma_f64 v[186:187], v[178:179], 2.0, -v[202:203]
	v_fma_f64 v[180:181], s[0:1], v[184:185], v[0:1]
	v_add_f64 v[194:195], v[6:7], -v[110:111]
	v_fma_f64 v[110:111], v[182:183], 2.0, -v[188:189]
	v_fma_f64 v[182:183], s[0:1], v[186:187], v[2:3]
	v_fmac_f64_e32 v[180:181], s[2:3], v[186:187]
	v_fma_f64 v[4:5], v[4:5], 2.0, -v[192:193]
	v_fma_f64 v[6:7], v[6:7], 2.0, -v[194:195]
	v_fmac_f64_e32 v[182:183], s[0:1], v[184:185]
	v_fma_f64 v[184:185], v[0:1], 2.0, -v[180:181]
	v_accvgpr_read_b32 v0, a141
	v_fma_f64 v[144:145], v[144:145], 2.0, -v[140:141]
	v_fma_f64 v[146:147], v[146:147], 2.0, -v[142:143]
	v_add_f64 v[160:161], v[164:165], v[160:161]
	v_add_f64 v[108:109], v[4:5], -v[108:109]
	v_add_f64 v[110:111], v[6:7], -v[110:111]
	;; [unrolled: 1-line block ×3, first 2 shown]
	v_fma_f64 v[196:197], s[2:3], v[200:201], v[10:11]
	v_fma_f64 v[198:199], s[2:3], v[202:203], v[8:9]
	s_waitcnt lgkmcnt(0)
	; wave barrier
	ds_write_b128 v0, v[124:127]
	ds_write_b128 v0, v[128:131] offset:160
	ds_write_b128 v0, v[136:139] offset:320
	;; [unrolled: 1-line block ×7, first 2 shown]
	v_accvgpr_read_b32 v0, a254
	v_fma_f64 v[164:165], v[164:165], 2.0, -v[160:161]
	v_fma_f64 v[166:167], v[166:167], 2.0, -v[162:163]
	;; [unrolled: 1-line block ×4, first 2 shown]
	v_add_f64 v[188:189], v[192:193], v[188:189]
	v_fmac_f64_e32 v[196:197], s[2:3], v[202:203]
	v_fmac_f64_e32 v[198:199], s[0:1], v[200:201]
	ds_write_b128 v0, v[148:151]
	ds_write_b128 v0, v[156:159] offset:160
	ds_write_b128 v0, v[164:167] offset:320
	;; [unrolled: 1-line block ×7, first 2 shown]
	v_accvgpr_read_b32 v0, a255
	v_fma_f64 v[186:187], v[2:3], 2.0, -v[182:183]
	v_fma_f64 v[192:193], v[192:193], 2.0, -v[188:189]
	;; [unrolled: 1-line block ×5, first 2 shown]
	ds_write_b128 v0, v[176:179]
	ds_write_b128 v0, v[184:187] offset:160
	ds_write_b128 v0, v[192:195] offset:320
	;; [unrolled: 1-line block ×7, first 2 shown]
	s_and_saveexec_b64 s[8:9], vcc
	s_cbranch_execz .LBB0_9
; %bb.8:
	v_accvgpr_read_b32 v126, a150
	v_accvgpr_read_b32 v122, a146
	;; [unrolled: 1-line block ×20, first 2 shown]
	v_mul_f64 v[8:9], v[128:129], v[92:93]
	v_accvgpr_read_b32 v136, a160
	v_accvgpr_read_b32 v137, a161
	;; [unrolled: 1-line block ×3, first 2 shown]
	v_mul_f64 v[110:111], v[124:125], v[102:103]
	v_accvgpr_read_b32 v144, a212
	v_accvgpr_read_b32 v145, a213
	v_accvgpr_read_b32 v131, a155
	v_mul_f64 v[0:1], v[132:133], v[96:97]
	v_accvgpr_read_b32 v119, a143
	v_mul_f64 v[2:3], v[120:121], v[90:91]
	v_accvgpr_read_b32 v139, a203
	v_accvgpr_read_b32 v147, a127
	;; [unrolled: 1-line block ×3, first 2 shown]
	v_mul_f64 v[4:5], v[140:141], v[148:149]
	v_fma_f64 v[8:9], v[126:127], v[94:95], -v[8:9]
	v_accvgpr_read_b32 v135, a159
	v_mul_f64 v[10:11], v[136:137], v[104:105]
	v_fmac_f64_e32 v[110:111], v[122:123], v[100:101]
	v_accvgpr_read_b32 v143, a211
	v_mul_f64 v[108:109], v[144:145], v[242:243]
	v_mul_f64 v[100:101], v[124:125], v[100:101]
	;; [unrolled: 1-line block ×3, first 2 shown]
	v_fma_f64 v[0:1], v[130:131], v[98:99], -v[0:1]
	v_fmac_f64_e32 v[2:3], v[118:119], v[88:89]
	v_fmac_f64_e32 v[4:5], v[138:139], v[146:147]
	v_fma_f64 v[10:11], v[134:135], v[106:107], -v[10:11]
	v_fmac_f64_e32 v[108:109], v[142:143], v[240:241]
	v_fma_f64 v[100:101], v[122:123], v[102:103], -v[100:101]
	v_mul_f64 v[102:103], v[144:145], v[240:241]
	v_fmac_f64_e32 v[94:95], v[126:127], v[92:93]
	v_mul_f64 v[92:93], v[136:137], v[106:107]
	v_add_f64 v[0:1], v[86:87], -v[0:1]
	v_add_f64 v[4:5], v[2:3], -v[4:5]
	;; [unrolled: 1-line block ×4, first 2 shown]
	v_fma_f64 v[102:103], v[142:143], v[242:243], -v[102:103]
	v_fmac_f64_e32 v[92:93], v[134:135], v[104:105]
	v_mul_f64 v[88:89], v[120:121], v[88:89]
	v_add_f64 v[6:7], v[0:1], -v[4:5]
	v_add_f64 v[114:115], v[10:11], -v[112:113]
	;; [unrolled: 1-line block ×4, first 2 shown]
	v_fma_f64 v[88:89], v[118:119], v[90:91], -v[88:89]
	v_mul_f64 v[90:91], v[140:141], v[146:147]
	v_fma_f64 v[108:109], s[2:3], v[114:115], v[6:7]
	v_add_f64 v[116:117], v[102:103], v[104:105]
	v_fma_f64 v[90:91], v[138:139], v[148:149], -v[90:91]
	v_fmac_f64_e32 v[108:109], s[0:1], v[116:117]
	v_add_f64 v[118:119], v[88:89], -v[90:91]
	v_mul_f64 v[90:91], v[132:133], v[98:99]
	v_fma_f64 v[92:93], v[6:7], 2.0, -v[108:109]
	v_fmac_f64_e32 v[90:91], v[130:131], v[96:97]
	v_fma_f64 v[122:123], v[86:87], 2.0, -v[0:1]
	v_fma_f64 v[0:1], v[0:1], 2.0, -v[6:7]
	;; [unrolled: 1-line block ×3, first 2 shown]
	v_add_f64 v[98:99], v[84:85], -v[90:91]
	v_fma_f64 v[2:3], v[2:3], 2.0, -v[4:5]
	v_fma_f64 v[4:5], v[8:9], 2.0, -v[10:11]
	;; [unrolled: 1-line block ×3, first 2 shown]
	v_fma_f64 v[100:101], s[0:1], v[6:7], v[0:1]
	v_fma_f64 v[10:11], v[104:105], 2.0, -v[116:117]
	v_add_f64 v[120:121], v[118:119], v[98:99]
	v_fmac_f64_e32 v[100:101], s[0:1], v[10:11]
	v_fma_f64 v[86:87], v[88:89], 2.0, -v[118:119]
	v_fma_f64 v[118:119], v[94:95], 2.0, -v[104:105]
	;; [unrolled: 1-line block ×5, first 2 shown]
	v_fma_f64 v[98:99], s[0:1], v[10:11], v[0:1]
	v_add_f64 v[88:89], v[122:123], -v[86:87]
	v_add_f64 v[8:9], v[4:5], -v[8:9]
	v_fmac_f64_e32 v[98:99], s[2:3], v[6:7]
	v_fma_f64 v[86:87], v[110:111], 2.0, -v[112:113]
	v_add_f64 v[2:3], v[124:125], -v[2:3]
	v_fma_f64 v[102:103], v[0:1], 2.0, -v[98:99]
	v_fma_f64 v[0:1], v[122:123], 2.0, -v[88:89]
	;; [unrolled: 1-line block ×3, first 2 shown]
	v_add_f64 v[110:111], v[118:119], -v[86:87]
	v_add_f64 v[84:85], v[2:3], v[8:9]
	v_add_f64 v[112:113], v[0:1], -v[4:5]
	v_fma_f64 v[106:107], s[2:3], v[116:117], v[120:121]
	v_fma_f64 v[94:95], v[2:3], 2.0, -v[84:85]
	v_fma_f64 v[116:117], v[0:1], 2.0, -v[112:113]
	;; [unrolled: 1-line block ×4, first 2 shown]
	v_add_f64 v[86:87], v[88:89], -v[110:111]
	v_add_f64 v[110:111], v[0:1], -v[2:3]
	v_fmac_f64_e32 v[106:107], s[2:3], v[114:115]
	v_fma_f64 v[114:115], v[0:1], 2.0, -v[110:111]
	s_movk_i32 s0, 0x50
	v_accvgpr_read_b32 v0, a139
	v_mul_u32_u24_sdwa v0, v0, s0 dst_sel:DWORD dst_unused:UNUSED_PAD src0_sel:BYTE_1 src1_sel:DWORD
	v_accvgpr_read_b32 v1, a140
	v_or_b32_e32 v0, v0, v1
	v_accvgpr_read_b32 v1, a83
	v_add_lshl_u32 v0, v1, v0, 4
	v_fma_f64 v[90:91], v[120:121], 2.0, -v[106:107]
	v_fma_f64 v[96:97], v[88:89], 2.0, -v[86:87]
	ds_write_b128 v0, v[114:117]
	ds_write_b128 v0, v[102:105] offset:160
	ds_write_b128 v0, v[94:97] offset:320
	;; [unrolled: 1-line block ×7, first 2 shown]
.LBB0_9:
	s_or_b64 exec, exec, s[8:9]
	s_waitcnt lgkmcnt(0)
	; wave barrier
	s_waitcnt lgkmcnt(0)
	ds_read_b128 v[88:91], v228 offset:1280
	ds_read_b128 v[92:95], v228 offset:2560
	;; [unrolled: 1-line block ×4, first 2 shown]
	v_accvgpr_read_b32 v2, a4
	v_accvgpr_read_b32 v4, a6
	;; [unrolled: 1-line block ×4, first 2 shown]
	s_waitcnt lgkmcnt(3)
	v_mul_f64 v[110:111], v[4:5], v[90:91]
	v_mul_f64 v[0:1], v[4:5], v[88:89]
	v_fmac_f64_e32 v[110:111], v[2:3], v[88:89]
	v_fma_f64 v[114:115], v[2:3], v[90:91], -v[0:1]
	v_accvgpr_read_b32 v5, a3
	ds_read_b128 v[88:91], v228 offset:3840
	ds_read_b128 v[132:135], v228 offset:3584
	v_accvgpr_read_b32 v4, a2
	v_accvgpr_read_b32 v3, a1
	;; [unrolled: 1-line block ×3, first 2 shown]
	s_waitcnt lgkmcnt(4)
	v_mul_f64 v[122:123], v[4:5], v[94:95]
	v_mul_f64 v[0:1], v[4:5], v[92:93]
	v_fmac_f64_e32 v[122:123], v[2:3], v[92:93]
	v_fma_f64 v[144:145], v[2:3], v[94:95], -v[0:1]
	v_accvgpr_read_b32 v2, a134
	ds_read_b128 v[92:95], v228 offset:5120
	ds_read_b128 v[100:103], v228 offset:5376
	v_accvgpr_read_b32 v4, a136
	v_accvgpr_read_b32 v5, a137
	;; [unrolled: 1-line block ×3, first 2 shown]
	s_waitcnt lgkmcnt(3)
	v_mul_f64 v[146:147], v[4:5], v[90:91]
	v_mul_f64 v[0:1], v[4:5], v[88:89]
	v_fmac_f64_e32 v[146:147], v[2:3], v[88:89]
	v_fma_f64 v[148:149], v[2:3], v[90:91], -v[0:1]
	v_accvgpr_read_b32 v2, a130
	v_accvgpr_read_b32 v4, a132
	;; [unrolled: 1-line block ×3, first 2 shown]
	ds_read_b128 v[104:107], v228 offset:6400
	ds_read_b128 v[136:139], v228 offset:6144
	v_accvgpr_read_b32 v3, a131
	s_waitcnt lgkmcnt(3)
	v_mul_f64 v[88:89], v[4:5], v[94:95]
	v_mul_f64 v[0:1], v[4:5], v[92:93]
	v_fmac_f64_e32 v[88:89], v[2:3], v[92:93]
	v_fma_f64 v[90:91], v[2:3], v[94:95], -v[0:1]
	v_accvgpr_read_b32 v2, a12
	v_accvgpr_read_b32 v4, a14
	;; [unrolled: 1-line block ×4, first 2 shown]
	s_waitcnt lgkmcnt(1)
	v_mul_f64 v[92:93], v[4:5], v[106:107]
	v_mul_f64 v[0:1], v[4:5], v[104:105]
	v_fmac_f64_e32 v[92:93], v[2:3], v[104:105]
	v_fma_f64 v[94:95], v[2:3], v[106:107], -v[0:1]
	ds_read_b128 v[4:7], v228 offset:1536
	ds_read_b128 v[104:107], v228 offset:1792
	v_accvgpr_read_b32 v8, a8
	v_mul_f64 v[118:119], v[14:15], v[98:99]
	v_accvgpr_read_b32 v10, a10
	s_waitcnt lgkmcnt(1)
	v_mul_f64 v[124:125], v[18:19], v[6:7]
	v_mul_f64 v[0:1], v[18:19], v[4:5]
	v_fmac_f64_e32 v[124:125], v[16:17], v[4:5]
	v_fma_f64 v[126:127], v[16:17], v[6:7], -v[0:1]
	ds_read_b128 v[4:7], v228 offset:4096
	ds_read_b128 v[140:143], v228 offset:4352
	v_mul_f64 v[0:1], v[14:15], v[96:97]
	v_accvgpr_read_b32 v11, a11
	v_fmac_f64_e32 v[118:119], v[12:13], v[96:97]
	v_fma_f64 v[120:121], v[12:13], v[98:99], -v[0:1]
	v_accvgpr_read_b32 v9, a9
	s_waitcnt lgkmcnt(1)
	v_mul_f64 v[12:13], v[10:11], v[6:7]
	v_fmac_f64_e32 v[12:13], v[8:9], v[4:5]
	v_mul_f64 v[0:1], v[10:11], v[4:5]
	v_accvgpr_read_b32 v2, a16
	v_accvgpr_read_b32 v4, a18
	;; [unrolled: 1-line block ×3, first 2 shown]
	v_fma_f64 v[14:15], v[8:9], v[6:7], -v[0:1]
	v_accvgpr_read_b32 v3, a17
	v_mul_f64 v[96:97], v[4:5], v[102:103]
	v_mul_f64 v[0:1], v[4:5], v[100:101]
	v_fmac_f64_e32 v[96:97], v[2:3], v[100:101]
	v_fma_f64 v[98:99], v[2:3], v[102:103], -v[0:1]
	ds_read_b128 v[0:3], v228 offset:6656
	ds_read_b128 v[4:7], v228 offset:6912
	v_mul_f64 v[16:17], v[34:35], v[106:107]
	v_fmac_f64_e32 v[16:17], v[32:33], v[104:105]
	s_mov_b32 s0, 0xe8584caa
	s_waitcnt lgkmcnt(1)
	v_mul_f64 v[100:101], v[26:27], v[2:3]
	v_fmac_f64_e32 v[100:101], v[24:25], v[0:1]
	v_mul_f64 v[0:1], v[26:27], v[0:1]
	v_fma_f64 v[102:103], v[24:25], v[2:3], -v[0:1]
	v_mul_f64 v[0:1], v[34:35], v[104:105]
	v_fma_f64 v[18:19], v[32:33], v[106:107], -v[0:1]
	ds_read_b128 v[0:3], v228 offset:3072
	ds_read_b128 v[8:11], v228 offset:3328
	s_waitcnt lgkmcnt(2)
	v_mul_f64 v[108:109], v[46:47], v[6:7]
	v_fmac_f64_e32 v[108:109], v[44:45], v[4:5]
	s_mov_b32 s1, 0xbfebb67a
	s_waitcnt lgkmcnt(1)
	v_mul_f64 v[128:129], v[22:23], v[2:3]
	v_fmac_f64_e32 v[128:129], v[20:21], v[0:1]
	v_mul_f64 v[0:1], v[22:23], v[0:1]
	v_fma_f64 v[130:131], v[20:21], v[2:3], -v[0:1]
	v_mul_f64 v[0:1], v[38:39], v[140:141]
	v_fma_f64 v[22:23], v[36:37], v[142:143], -v[0:1]
	ds_read_b128 v[0:3], v228 offset:5632
	ds_read_b128 v[32:35], v228 offset:5888
	v_mul_f64 v[20:21], v[38:39], v[142:143]
	v_fmac_f64_e32 v[20:21], v[36:37], v[140:141]
	s_mov_b32 s3, 0x3febb67a
	s_waitcnt lgkmcnt(1)
	v_mul_f64 v[104:105], v[30:31], v[2:3]
	v_fmac_f64_e32 v[104:105], v[28:29], v[0:1]
	v_mul_f64 v[0:1], v[30:31], v[0:1]
	v_fma_f64 v[106:107], v[28:29], v[2:3], -v[0:1]
	v_mul_f64 v[0:1], v[46:47], v[4:5]
	v_fma_f64 v[44:45], v[44:45], v[6:7], -v[0:1]
	ds_read_b128 v[0:3], v228 offset:2048
	ds_read_b128 v[4:7], v228 offset:2304
	;; [unrolled: 12-line block ×3, first 2 shown]
	s_waitcnt lgkmcnt(1)
	v_mul_f64 v[28:29], v[42:43], v[2:3]
	v_fmac_f64_e32 v[28:29], v[40:41], v[0:1]
	v_mul_f64 v[0:1], v[42:43], v[0:1]
	v_fma_f64 v[112:113], v[40:41], v[2:3], -v[0:1]
	v_mul_f64 v[0:1], v[54:55], v[32:33]
	v_fma_f64 v[42:43], v[52:53], v[34:35], -v[0:1]
	ds_read_b128 v[0:3], v228 offset:7168
	ds_read_b128 v[140:143], v228 offset:7424
	v_mul_f64 v[40:41], v[54:55], v[34:35]
	v_fmac_f64_e32 v[40:41], v[52:53], v[32:33]
	v_mul_f64 v[32:33], v[82:83], v[6:7]
	s_waitcnt lgkmcnt(1)
	v_mul_f64 v[46:47], v[74:75], v[2:3]
	v_fmac_f64_e32 v[46:47], v[72:73], v[0:1]
	v_mul_f64 v[0:1], v[74:75], v[0:1]
	v_fma_f64 v[48:49], v[72:73], v[2:3], -v[0:1]
	v_mul_f64 v[0:1], v[82:83], v[4:5]
	v_fma_f64 v[34:35], v[80:81], v[6:7], -v[0:1]
	v_mul_f64 v[0:1], v[70:71], v[132:133]
	v_fmac_f64_e32 v[32:33], v[80:81], v[4:5]
	v_fma_f64 v[80:81], v[68:69], v[134:135], -v[0:1]
	v_mul_f64 v[36:37], v[66:67], v[10:11]
	v_mul_f64 v[0:1], v[66:67], v[8:9]
	v_fmac_f64_e32 v[36:37], v[64:65], v[8:9]
	v_fma_f64 v[38:39], v[64:65], v[10:11], -v[0:1]
	ds_read_b128 v[4:7], v222
	ds_read_b128 v[8:11], v228 offset:256
	v_mul_f64 v[0:1], v[62:63], v[136:137]
	v_fma_f64 v[56:57], v[60:61], v[138:139], -v[0:1]
	s_waitcnt lgkmcnt(2)
	v_mul_f64 v[0:1], v[78:79], v[140:141]
	v_mul_f64 v[52:53], v[62:63], v[138:139]
	v_fma_f64 v[54:55], v[76:77], v[142:143], -v[0:1]
	v_add_f64 v[0:1], v[122:123], v[88:89]
	v_fmac_f64_e32 v[52:53], v[60:61], v[136:137]
	s_waitcnt lgkmcnt(1)
	v_add_f64 v[60:61], v[4:5], v[122:123]
	v_fmac_f64_e32 v[4:5], -0.5, v[0:1]
	v_add_f64 v[0:1], v[144:145], -v[90:91]
	v_fma_f64 v[58:59], s[0:1], v[0:1], v[4:5]
	v_fmac_f64_e32 v[4:5], s[2:3], v[0:1]
	v_add_f64 v[0:1], v[144:145], v[90:91]
	v_add_f64 v[64:65], v[6:7], v[144:145]
	v_fmac_f64_e32 v[6:7], -0.5, v[0:1]
	v_add_f64 v[0:1], v[122:123], -v[88:89]
	v_mul_f64 v[74:75], v[70:71], v[134:135]
	v_fma_f64 v[62:63], s[2:3], v[0:1], v[6:7]
	v_fmac_f64_e32 v[6:7], s[0:1], v[0:1]
	v_add_f64 v[0:1], v[146:147], v[92:93]
	v_fmac_f64_e32 v[74:75], v[68:69], v[132:133]
	v_add_f64 v[68:69], v[110:111], v[146:147]
	v_fmac_f64_e32 v[110:111], -0.5, v[0:1]
	v_add_f64 v[0:1], v[148:149], -v[94:95]
	v_fma_f64 v[66:67], s[0:1], v[0:1], v[110:111]
	v_fmac_f64_e32 v[110:111], s[2:3], v[0:1]
	v_add_f64 v[0:1], v[148:149], v[94:95]
	v_add_f64 v[72:73], v[114:115], v[148:149]
	v_fmac_f64_e32 v[114:115], -0.5, v[0:1]
	v_add_f64 v[0:1], v[146:147], -v[92:93]
	v_mul_f64 v[50:51], v[78:79], v[142:143]
	v_fma_f64 v[70:71], s[2:3], v[0:1], v[114:115]
	v_fmac_f64_e32 v[114:115], s[0:1], v[0:1]
	v_fmac_f64_e32 v[50:51], v[76:77], v[140:141]
	v_mul_f64 v[76:77], v[114:115], s[0:1]
	v_fmac_f64_e32 v[76:77], -0.5, v[110:111]
	v_mul_f64 v[78:79], v[114:115], -0.5
	v_add_f64 v[0:1], v[4:5], v[76:77]
	v_fmac_f64_e32 v[78:79], s[2:3], v[110:111]
	v_add_f64 v[4:5], v[4:5], -v[76:77]
	v_add_f64 v[76:77], v[118:119], v[96:97]
	v_add_f64 v[2:3], v[6:7], v[78:79]
	v_add_f64 v[6:7], v[6:7], -v[78:79]
	s_waitcnt lgkmcnt(0)
	v_add_f64 v[78:79], v[8:9], v[118:119]
	v_fmac_f64_e32 v[8:9], -0.5, v[76:77]
	v_add_f64 v[82:83], v[120:121], -v[98:99]
	v_fma_f64 v[76:77], s[0:1], v[82:83], v[8:9]
	v_fmac_f64_e32 v[8:9], s[2:3], v[82:83]
	v_add_f64 v[82:83], v[120:121], v[98:99]
	v_add_f64 v[110:111], v[10:11], v[120:121]
	v_fmac_f64_e32 v[10:11], -0.5, v[82:83]
	v_add_f64 v[114:115], v[118:119], -v[96:97]
	v_fma_f64 v[82:83], s[2:3], v[114:115], v[10:11]
	v_fmac_f64_e32 v[10:11], s[0:1], v[114:115]
	v_add_f64 v[114:115], v[12:13], v[100:101]
	v_add_f64 v[120:121], v[14:15], -v[102:103]
	v_add_f64 v[122:123], v[126:127], v[14:15]
	v_add_f64 v[14:15], v[14:15], v[102:103]
	;; [unrolled: 1-line block ×3, first 2 shown]
	v_fmac_f64_e32 v[124:125], -0.5, v[114:115]
	v_fmac_f64_e32 v[126:127], -0.5, v[14:15]
	v_add_f64 v[12:13], v[12:13], -v[100:101]
	ds_read_b128 v[140:143], v228 offset:512
	ds_read_b128 v[144:147], v228 offset:768
	v_fma_f64 v[114:115], s[0:1], v[120:121], v[124:125]
	v_fmac_f64_e32 v[124:125], s[2:3], v[120:121]
	v_fma_f64 v[120:121], s[2:3], v[12:13], v[126:127]
	v_fmac_f64_e32 v[126:127], s[0:1], v[12:13]
	v_mul_f64 v[132:133], v[126:127], s[0:1]
	v_mul_f64 v[126:127], v[126:127], -0.5
	v_fmac_f64_e32 v[132:133], -0.5, v[124:125]
	v_fmac_f64_e32 v[126:127], s[2:3], v[124:125]
	v_add_f64 v[124:125], v[128:129], v[104:105]
	v_add_f64 v[12:13], v[8:9], v[132:133]
	;; [unrolled: 1-line block ×3, first 2 shown]
	v_add_f64 v[8:9], v[8:9], -v[132:133]
	v_add_f64 v[10:11], v[10:11], -v[126:127]
	s_waitcnt lgkmcnt(1)
	v_add_f64 v[126:127], v[140:141], v[128:129]
	v_fmac_f64_e32 v[140:141], -0.5, v[124:125]
	v_add_f64 v[132:133], v[130:131], -v[106:107]
	v_fma_f64 v[124:125], s[0:1], v[132:133], v[140:141]
	v_fmac_f64_e32 v[140:141], s[2:3], v[132:133]
	v_add_f64 v[132:133], v[142:143], v[130:131]
	v_add_f64 v[130:131], v[130:131], v[106:107]
	v_fmac_f64_e32 v[142:143], -0.5, v[130:131]
	v_add_f64 v[130:131], v[128:129], -v[104:105]
	v_fma_f64 v[128:129], s[2:3], v[130:131], v[142:143]
	v_fmac_f64_e32 v[142:143], s[0:1], v[130:131]
	v_add_f64 v[130:131], v[20:21], v[108:109]
	v_add_f64 v[136:137], v[22:23], -v[44:45]
	v_add_f64 v[138:139], v[18:19], v[22:23]
	v_add_f64 v[22:23], v[22:23], v[44:45]
	;; [unrolled: 1-line block ×3, first 2 shown]
	v_fmac_f64_e32 v[16:17], -0.5, v[130:131]
	v_fmac_f64_e32 v[18:19], -0.5, v[22:23]
	v_add_f64 v[20:21], v[20:21], -v[108:109]
	v_fma_f64 v[130:131], s[0:1], v[136:137], v[16:17]
	v_fmac_f64_e32 v[16:17], s[2:3], v[136:137]
	v_fma_f64 v[136:137], s[2:3], v[20:21], v[18:19]
	v_fmac_f64_e32 v[18:19], s[0:1], v[20:21]
	v_mul_f64 v[148:149], v[18:19], s[0:1]
	v_mul_f64 v[18:19], v[18:19], -0.5
	v_fmac_f64_e32 v[18:19], s[2:3], v[16:17]
	v_fmac_f64_e32 v[148:149], -0.5, v[16:17]
	v_add_f64 v[22:23], v[142:143], v[18:19]
	v_add_f64 v[18:19], v[142:143], -v[18:19]
	v_add_f64 v[142:143], v[30:31], v[40:41]
	v_add_f64 v[20:21], v[140:141], v[148:149]
	v_add_f64 v[16:17], v[140:141], -v[148:149]
	s_waitcnt lgkmcnt(0)
	v_add_f64 v[140:141], v[144:145], v[30:31]
	v_fmac_f64_e32 v[144:145], -0.5, v[142:143]
	v_add_f64 v[142:143], v[116:117], -v[42:43]
	v_fma_f64 v[148:149], s[0:1], v[142:143], v[144:145]
	v_fmac_f64_e32 v[144:145], s[2:3], v[142:143]
	v_add_f64 v[142:143], v[146:147], v[116:117]
	v_add_f64 v[116:117], v[116:117], v[42:43]
	v_fmac_f64_e32 v[146:147], -0.5, v[116:117]
	v_add_f64 v[30:31], v[30:31], -v[40:41]
	v_fma_f64 v[150:151], s[2:3], v[30:31], v[146:147]
	v_fmac_f64_e32 v[146:147], s[0:1], v[30:31]
	v_add_f64 v[30:31], v[28:29], v[46:47]
	;; [unrolled: 6-line block ×3, first 2 shown]
	v_add_f64 v[154:155], v[26:27], v[112:113]
	v_fmac_f64_e32 v[26:27], -0.5, v[30:31]
	v_add_f64 v[28:29], v[28:29], -v[46:47]
	v_fma_f64 v[156:157], s[2:3], v[28:29], v[26:27]
	v_fmac_f64_e32 v[26:27], s[0:1], v[28:29]
	v_mul_f64 v[112:113], v[26:27], s[0:1]
	v_fmac_f64_e32 v[112:113], -0.5, v[24:25]
	v_mul_f64 v[26:27], v[26:27], -0.5
	v_fmac_f64_e32 v[26:27], s[2:3], v[24:25]
	v_add_f64 v[28:29], v[144:145], v[112:113]
	v_add_f64 v[24:25], v[144:145], -v[112:113]
	v_add_f64 v[112:113], v[74:75], v[52:53]
	v_add_f64 v[144:145], v[84:85], v[74:75]
	v_fmac_f64_e32 v[84:85], -0.5, v[112:113]
	v_add_f64 v[112:113], v[80:81], -v[56:57]
	v_add_f64 v[158:159], v[86:87], v[80:81]
	v_add_f64 v[80:81], v[80:81], v[56:57]
	v_fmac_f64_e32 v[86:87], -0.5, v[80:81]
	v_add_f64 v[74:75], v[74:75], -v[52:53]
	v_fma_f64 v[160:161], s[2:3], v[74:75], v[86:87]
	v_fmac_f64_e32 v[86:87], s[0:1], v[74:75]
	v_add_f64 v[74:75], v[36:37], v[50:51]
	v_add_f64 v[162:163], v[32:33], v[36:37]
	v_fmac_f64_e32 v[32:33], -0.5, v[74:75]
	v_add_f64 v[74:75], v[38:39], -v[54:55]
	v_add_f64 v[166:167], v[34:35], v[38:39]
	v_add_f64 v[38:39], v[38:39], v[54:55]
	v_fmac_f64_e32 v[34:35], -0.5, v[38:39]
	v_add_f64 v[36:37], v[36:37], -v[50:51]
	v_fma_f64 v[168:169], s[2:3], v[36:37], v[34:35]
	v_fmac_f64_e32 v[34:35], s[0:1], v[36:37]
	v_fma_f64 v[164:165], s[0:1], v[74:75], v[32:33]
	v_fmac_f64_e32 v[32:33], s[2:3], v[74:75]
	v_mul_f64 v[74:75], v[34:35], s[0:1]
	v_add_f64 v[30:31], v[146:147], v[26:27]
	v_add_f64 v[26:27], v[146:147], -v[26:27]
	v_fma_f64 v[146:147], s[0:1], v[112:113], v[84:85]
	v_fmac_f64_e32 v[84:85], s[2:3], v[112:113]
	v_fmac_f64_e32 v[74:75], -0.5, v[32:33]
	v_mul_f64 v[34:35], v[34:35], -0.5
	v_add_f64 v[60:61], v[60:61], v[88:89]
	v_add_f64 v[68:69], v[68:69], v[92:93]
	v_fmac_f64_e32 v[34:35], s[2:3], v[32:33]
	v_add_f64 v[36:37], v[84:85], v[74:75]
	v_add_f64 v[32:33], v[84:85], -v[74:75]
	v_add_f64 v[80:81], v[72:73], v[94:95]
	v_add_f64 v[72:73], v[60:61], v[68:69]
	v_add_f64 v[84:85], v[60:61], -v[68:69]
	v_mul_f64 v[60:61], v[70:71], s[0:1]
	v_mul_f64 v[68:69], v[70:71], 0.5
	v_add_f64 v[64:65], v[64:65], v[90:91]
	v_fmac_f64_e32 v[60:61], 0.5, v[66:67]
	v_fmac_f64_e32 v[68:69], s[2:3], v[66:67]
	v_add_f64 v[38:39], v[86:87], v[34:35]
	v_add_f64 v[34:35], v[86:87], -v[34:35]
	v_add_f64 v[74:75], v[64:65], v[80:81]
	v_add_f64 v[86:87], v[64:65], -v[80:81]
	v_add_f64 v[64:65], v[58:59], v[60:61]
	v_add_f64 v[66:67], v[62:63], v[68:69]
	v_add_f64 v[58:59], v[58:59], -v[60:61]
	v_add_f64 v[60:61], v[62:63], -v[68:69]
	v_add_f64 v[62:63], v[78:79], v[96:97]
	v_add_f64 v[78:79], v[118:119], v[100:101]
	;; [unrolled: 1-line block ×3, first 2 shown]
	v_add_f64 v[78:79], v[62:63], -v[78:79]
	v_mul_f64 v[62:63], v[120:121], s[0:1]
	v_mul_f64 v[94:95], v[120:121], 0.5
	v_add_f64 v[80:81], v[110:111], v[98:99]
	v_add_f64 v[88:89], v[122:123], v[102:103]
	v_fmac_f64_e32 v[62:63], 0.5, v[114:115]
	v_fmac_f64_e32 v[94:95], s[2:3], v[114:115]
	v_add_f64 v[70:71], v[80:81], v[88:89]
	v_add_f64 v[80:81], v[80:81], -v[88:89]
	v_add_f64 v[88:89], v[76:77], v[62:63]
	v_add_f64 v[90:91], v[82:83], v[94:95]
	v_add_f64 v[92:93], v[76:77], -v[62:63]
	v_add_f64 v[94:95], v[82:83], -v[94:95]
	v_add_f64 v[62:63], v[126:127], v[104:105]
	v_add_f64 v[82:83], v[134:135], v[108:109]
	;; [unrolled: 1-line block ×5, first 2 shown]
	v_add_f64 v[100:101], v[62:63], -v[82:83]
	v_mul_f64 v[62:63], v[136:137], 0.5
	v_add_f64 v[98:99], v[76:77], v[44:45]
	v_add_f64 v[102:103], v[76:77], -v[44:45]
	v_mul_f64 v[44:45], v[136:137], s[0:1]
	v_fmac_f64_e32 v[62:63], s[2:3], v[130:131]
	v_add_f64 v[42:43], v[142:143], v[42:43]
	v_add_f64 v[48:49], v[154:155], v[48:49]
	v_fmac_f64_e32 v[44:45], 0.5, v[130:131]
	v_add_f64 v[106:107], v[128:129], v[62:63]
	v_add_f64 v[110:111], v[128:129], -v[62:63]
	v_add_f64 v[40:41], v[140:141], v[40:41]
	v_add_f64 v[62:63], v[116:117], v[46:47]
	;; [unrolled: 1-line block ×3, first 2 shown]
	v_add_f64 v[114:115], v[42:43], -v[48:49]
	v_mul_f64 v[42:43], v[156:157], 0.5
	v_add_f64 v[104:105], v[124:125], v[44:45]
	v_add_f64 v[108:109], v[124:125], -v[44:45]
	v_add_f64 v[44:45], v[40:41], v[62:63]
	v_add_f64 v[112:113], v[40:41], -v[62:63]
	v_mul_f64 v[40:41], v[156:157], s[0:1]
	v_fmac_f64_e32 v[42:43], s[2:3], v[152:153]
	v_mul_f64 v[62:63], v[168:169], s[0:1]
	v_mul_f64 v[76:77], v[168:169], 0.5
	v_fmac_f64_e32 v[40:41], 0.5, v[152:153]
	v_add_f64 v[118:119], v[150:151], v[42:43]
	v_add_f64 v[122:123], v[150:151], -v[42:43]
	v_add_f64 v[42:43], v[144:145], v[52:53]
	v_add_f64 v[56:57], v[158:159], v[56:57]
	;; [unrolled: 1-line block ×4, first 2 shown]
	v_fmac_f64_e32 v[62:63], 0.5, v[164:165]
	v_fmac_f64_e32 v[76:77], s[2:3], v[164:165]
	v_add_f64 v[116:117], v[148:149], v[40:41]
	v_add_f64 v[120:121], v[148:149], -v[40:41]
	v_add_f64 v[48:49], v[42:43], v[52:53]
	v_add_f64 v[50:51], v[56:57], v[54:55]
	v_add_f64 v[52:53], v[42:43], -v[52:53]
	v_add_f64 v[54:55], v[56:57], -v[54:55]
	v_add_f64 v[124:125], v[146:147], v[62:63]
	v_add_f64 v[126:127], v[160:161], v[76:77]
	v_add_f64 v[128:129], v[146:147], -v[62:63]
	v_add_f64 v[130:131], v[160:161], -v[76:77]
	ds_write_b128 v222, v[72:75]
	ds_write_b128 v228, v[64:67] offset:1280
	ds_write_b128 v228, v[0:3] offset:2560
	;; [unrolled: 1-line block ×29, first 2 shown]
	s_waitcnt lgkmcnt(0)
	; wave barrier
	s_waitcnt lgkmcnt(0)
	scratch_load_dwordx4 v[18:21], off, off offset:40 ; 16-byte Folded Reload
	scratch_load_dwordx4 v[26:29], off, off offset:56 ; 16-byte Folded Reload
	;; [unrolled: 1-line block ×4, first 2 shown]
	ds_read_b128 v[4:7], v222
	v_accvgpr_read_b32 v62, a82
	v_mad_u64_u32 v[42:43], s[0:1], s6, v62, 0
	v_mov_b32_e32 v56, v43
	v_accvgpr_read_b32 v10, a42
	v_mad_u64_u32 v[0:1], s[0:1], s7, v62, v[56:57]
	v_accvgpr_read_b32 v12, a44
	v_accvgpr_read_b32 v13, a45
	v_mov_b32_e32 v43, v0
	ds_read_b128 v[0:3], v228 offset:256
	v_accvgpr_read_b32 v11, a43
	s_waitcnt lgkmcnt(1)
	v_mul_f64 v[8:9], v[12:13], v[6:7]
	v_fmac_f64_e32 v[8:9], v[10:11], v[4:5]
	s_mov_b32 s0, 0x11111111
	v_mul_f64 v[4:5], v[12:13], v[4:5]
	s_mov_b32 s1, 0x3f611111
	v_fma_f64 v[4:5], v[10:11], v[6:7], -v[4:5]
	v_accvgpr_read_b32 v7, a28
	v_mul_f64 v[10:11], v[4:5], s[0:1]
	v_mad_u64_u32 v[4:5], s[2:3], s4, v7, 0
	ds_read_b128 v[12:15], v228 offset:768
	v_mov_b32_e32 v6, v5
	v_mov_b32_e32 v40, s12
	;; [unrolled: 1-line block ×3, first 2 shown]
	v_mad_u64_u32 v[6:7], s[2:3], s5, v7, v[6:7]
	v_mov_b32_e32 v5, v6
	v_lshl_add_u64 v[6:7], v[42:43], 4, v[40:41]
	v_mul_f64 v[8:9], v[8:9], s[0:1]
	v_lshl_add_u64 v[16:17], v[4:5], 4, v[6:7]
	ds_read_b128 v[4:7], v228 offset:512
	global_store_dwordx4 v[16:17], v[8:11], off
	v_mov_b32_e32 v50, 0x300
	v_accvgpr_read_b32 v41, a27
	v_accvgpr_read_b32 v40, a26
	;; [unrolled: 1-line block ×16, first 2 shown]
	v_mov_b32_e32 v51, 0xffffe600
	s_waitcnt vmcnt(4) lgkmcnt(1)
	v_mul_f64 v[8:9], v[20:21], v[14:15]
	v_mul_f64 v[10:11], v[20:21], v[12:13]
	v_fmac_f64_e32 v[8:9], v[18:19], v[12:13]
	v_fma_f64 v[10:11], v[18:19], v[14:15], -v[10:11]
	ds_read_b128 v[12:15], v228 offset:1536
	v_mad_u64_u32 v[20:21], s[2:3], s4, v50, v[16:17]
	ds_read_b128 v[16:19], v228 offset:1792
	s_mul_i32 s2, s5, 0x300
	v_mul_f64 v[8:9], v[8:9], s[0:1]
	v_mul_f64 v[10:11], v[10:11], s[0:1]
	v_add_u32_e32 v21, s2, v21
	global_store_dwordx4 v[20:21], v[8:11], off
	s_mul_i32 s3, s5, 0xffffe600
	s_sub_i32 s3, s3, s4
	s_waitcnt vmcnt(3) lgkmcnt(1)
	v_mul_f64 v[8:9], v[24:25], v[14:15]
	v_mul_f64 v[10:11], v[24:25], v[12:13]
	v_fmac_f64_e32 v[8:9], v[22:23], v[12:13]
	v_fma_f64 v[10:11], v[22:23], v[14:15], -v[10:11]
	ds_read_b128 v[12:15], v228 offset:2304
	v_mad_u64_u32 v[24:25], s[6:7], s4, v50, v[20:21]
	v_mul_f64 v[8:9], v[8:9], s[0:1]
	v_mul_f64 v[10:11], v[10:11], s[0:1]
	v_add_u32_e32 v25, s2, v25
	global_store_dwordx4 v[24:25], v[8:11], off
	ds_read_b128 v[8:11], v228 offset:2048
	s_waitcnt lgkmcnt(1)
	v_mul_f64 v[20:21], v[28:29], v[14:15]
	v_fmac_f64_e32 v[20:21], v[26:27], v[12:13]
	v_mul_f64 v[12:13], v[28:29], v[12:13]
	scratch_load_dwordx4 v[28:31], off, off offset:108 ; 16-byte Folded Reload
	v_fma_f64 v[12:13], v[26:27], v[14:15], -v[12:13]
	v_mul_f64 v[22:23], v[12:13], s[0:1]
	ds_read_b128 v[12:15], v228 offset:3072
	v_mad_u64_u32 v[32:33], s[6:7], s4, v50, v[24:25]
	ds_read_b128 v[24:27], v228 offset:3328
	v_mul_f64 v[20:21], v[20:21], s[0:1]
	v_add_u32_e32 v33, s2, v33
	global_store_dwordx4 v[32:33], v[20:23], off
	v_mad_u64_u32 v[32:33], s[6:7], s4, v50, v[32:33]
	v_add_u32_e32 v33, s2, v33
	s_waitcnt vmcnt(1) lgkmcnt(1)
	v_mul_f64 v[20:21], v[30:31], v[14:15]
	v_fmac_f64_e32 v[20:21], v[28:29], v[12:13]
	v_mul_f64 v[12:13], v[30:31], v[12:13]
	v_fma_f64 v[12:13], v[28:29], v[14:15], -v[12:13]
	ds_read_b128 v[28:31], v228 offset:3840
	v_mul_f64 v[20:21], v[20:21], s[0:1]
	v_mul_f64 v[22:23], v[12:13], s[0:1]
	ds_read_b128 v[12:15], v228 offset:3584
	global_store_dwordx4 v[32:33], v[20:23], off
	s_waitcnt lgkmcnt(1)
	s_nop 0
	v_mul_f64 v[20:21], v[36:37], v[30:31]
	v_mul_f64 v[22:23], v[36:37], v[28:29]
	v_fmac_f64_e32 v[20:21], v[34:35], v[28:29]
	v_fma_f64 v[22:23], v[34:35], v[30:31], -v[22:23]
	ds_read_b128 v[28:31], v228 offset:4608
	v_mad_u64_u32 v[36:37], s[6:7], s4, v50, v[32:33]
	ds_read_b128 v[32:35], v228 offset:4864
	v_mul_f64 v[20:21], v[20:21], s[0:1]
	v_mul_f64 v[22:23], v[22:23], s[0:1]
	v_add_u32_e32 v37, s2, v37
	global_store_dwordx4 v[36:37], v[20:23], off
	s_waitcnt lgkmcnt(1)
	s_nop 0
	v_mul_f64 v[20:21], v[40:41], v[30:31]
	v_mul_f64 v[22:23], v[40:41], v[28:29]
	v_fmac_f64_e32 v[20:21], v[38:39], v[28:29]
	v_fma_f64 v[22:23], v[38:39], v[30:31], -v[22:23]
	ds_read_b128 v[28:31], v228 offset:5376
	v_mad_u64_u32 v[40:41], s[6:7], s4, v50, v[36:37]
	v_mul_f64 v[20:21], v[20:21], s[0:1]
	v_mul_f64 v[22:23], v[22:23], s[0:1]
	v_add_u32_e32 v41, s2, v41
	global_store_dwordx4 v[40:41], v[20:23], off
	ds_read_b128 v[20:23], v228 offset:5120
	s_waitcnt lgkmcnt(1)
	v_mul_f64 v[36:37], v[44:45], v[30:31]
	v_fmac_f64_e32 v[36:37], v[42:43], v[28:29]
	v_mul_f64 v[28:29], v[44:45], v[28:29]
	v_fma_f64 v[28:29], v[42:43], v[30:31], -v[28:29]
	v_mul_f64 v[38:39], v[28:29], s[0:1]
	ds_read_b128 v[28:31], v228 offset:6144
	v_mad_u64_u32 v[44:45], s[6:7], s4, v50, v[40:41]
	v_mul_f64 v[36:37], v[36:37], s[0:1]
	v_add_u32_e32 v45, s2, v45
	global_store_dwordx4 v[44:45], v[36:39], off
	ds_read_b128 v[36:39], v228 offset:6400
	s_waitcnt lgkmcnt(1)
	v_mul_f64 v[40:41], v[48:49], v[30:31]
	v_fmac_f64_e32 v[40:41], v[46:47], v[28:29]
	v_mul_f64 v[28:29], v[48:49], v[28:29]
	v_fma_f64 v[28:29], v[46:47], v[30:31], -v[28:29]
	v_mul_f64 v[42:43], v[28:29], s[0:1]
	ds_read_b128 v[28:31], v228 offset:6912
	v_mad_u64_u32 v[48:49], s[6:7], s4, v50, v[44:45]
	v_mul_f64 v[40:41], v[40:41], s[0:1]
	v_add_u32_e32 v49, s2, v49
	global_store_dwordx4 v[48:49], v[40:43], off
	ds_read_b128 v[40:43], v228 offset:6656
	s_waitcnt lgkmcnt(1)
	v_mul_f64 v[44:45], v[54:55], v[30:31]
	v_fmac_f64_e32 v[44:45], v[52:53], v[28:29]
	v_mul_f64 v[28:29], v[54:55], v[28:29]
	v_fma_f64 v[28:29], v[52:53], v[30:31], -v[28:29]
	v_mad_u64_u32 v[48:49], s[6:7], s4, v50, v[48:49]
	v_mul_f64 v[44:45], v[44:45], s[0:1]
	v_mul_f64 v[46:47], v[28:29], s[0:1]
	v_add_u32_e32 v49, s2, v49
	global_store_dwordx4 v[48:49], v[44:47], off
	v_mad_u64_u32 v[48:49], s[6:7], s4, v51, v[48:49]
	s_nop 0
	v_accvgpr_read_b32 v47, a41
	v_accvgpr_read_b32 v46, a40
	;; [unrolled: 1-line block ×4, first 2 shown]
	v_mul_f64 v[28:29], v[46:47], v[2:3]
	v_fmac_f64_e32 v[28:29], v[44:45], v[0:1]
	v_mul_f64 v[0:1], v[46:47], v[0:1]
	v_fma_f64 v[0:1], v[44:45], v[2:3], -v[0:1]
	v_mul_f64 v[30:31], v[0:1], s[0:1]
	ds_read_b128 v[0:3], v228 offset:1024
	v_accvgpr_read_b32 v55, a49
	v_mul_f64 v[28:29], v[28:29], s[0:1]
	v_add_u32_e32 v49, s3, v49
	v_accvgpr_read_b32 v54, a48
	global_store_dwordx4 v[48:49], v[28:31], off
	ds_read_b128 v[28:31], v228 offset:1280
	v_accvgpr_read_b32 v53, a47
	v_accvgpr_read_b32 v52, a46
	s_waitcnt lgkmcnt(1)
	v_mul_f64 v[44:45], v[54:55], v[2:3]
	v_fmac_f64_e32 v[44:45], v[52:53], v[0:1]
	v_mul_f64 v[0:1], v[54:55], v[0:1]
	v_fma_f64 v[0:1], v[52:53], v[2:3], -v[0:1]
	v_mad_u64_u32 v[48:49], s[6:7], s4, v50, v[48:49]
	v_mul_f64 v[44:45], v[44:45], s[0:1]
	v_mul_f64 v[46:47], v[0:1], s[0:1]
	v_add_u32_e32 v49, s2, v49
	global_store_dwordx4 v[48:49], v[44:47], off
	v_mad_u64_u32 v[48:49], s[6:7], s4, v50, v[48:49]
	s_nop 0
	v_accvgpr_read_b32 v44, a50
	v_accvgpr_read_b32 v46, a52
	v_accvgpr_read_b32 v47, a53
	v_accvgpr_read_b32 v45, a51
	v_mul_f64 v[0:1], v[46:47], v[18:19]
	v_mul_f64 v[2:3], v[46:47], v[16:17]
	v_fmac_f64_e32 v[0:1], v[44:45], v[16:17]
	v_fma_f64 v[2:3], v[44:45], v[18:19], -v[2:3]
	ds_read_b128 v[16:19], v228 offset:2560
	v_accvgpr_read_b32 v52, a58
	v_mul_f64 v[0:1], v[0:1], s[0:1]
	v_mul_f64 v[2:3], v[2:3], s[0:1]
	v_add_u32_e32 v49, s2, v49
	v_accvgpr_read_b32 v54, a60
	v_accvgpr_read_b32 v55, a61
	global_store_dwordx4 v[48:49], v[0:3], off
	ds_read_b128 v[0:3], v228 offset:2816
	v_accvgpr_read_b32 v53, a59
	s_waitcnt lgkmcnt(1)
	v_mul_f64 v[44:45], v[54:55], v[18:19]
	v_fmac_f64_e32 v[44:45], v[52:53], v[16:17]
	v_mul_f64 v[16:17], v[54:55], v[16:17]
	v_fma_f64 v[16:17], v[52:53], v[18:19], -v[16:17]
	v_mad_u64_u32 v[48:49], s[6:7], s4, v50, v[48:49]
	v_mul_f64 v[44:45], v[44:45], s[0:1]
	v_mul_f64 v[46:47], v[16:17], s[0:1]
	v_add_u32_e32 v49, s2, v49
	global_store_dwordx4 v[48:49], v[44:47], off
	v_mad_u64_u32 v[48:49], s[6:7], s4, v50, v[48:49]
	s_nop 0
	v_accvgpr_read_b32 v44, a62
	v_accvgpr_read_b32 v46, a64
	v_accvgpr_read_b32 v47, a65
	v_accvgpr_read_b32 v45, a63
	v_mul_f64 v[16:17], v[46:47], v[26:27]
	v_mul_f64 v[18:19], v[46:47], v[24:25]
	v_fmac_f64_e32 v[16:17], v[44:45], v[24:25]
	v_fma_f64 v[18:19], v[44:45], v[26:27], -v[18:19]
	ds_read_b128 v[24:27], v228 offset:4096
	v_accvgpr_read_b32 v52, a66
	v_mul_f64 v[16:17], v[16:17], s[0:1]
	v_mul_f64 v[18:19], v[18:19], s[0:1]
	v_add_u32_e32 v49, s2, v49
	v_accvgpr_read_b32 v54, a68
	v_accvgpr_read_b32 v55, a69
	global_store_dwordx4 v[48:49], v[16:19], off
	ds_read_b128 v[16:19], v228 offset:4352
	;; [unrolled: 30-line block ×4, first 2 shown]
	v_accvgpr_read_b32 v53, a55
	s_waitcnt lgkmcnt(1)
	v_mul_f64 v[44:45], v[54:55], v[38:39]
	v_fmac_f64_e32 v[44:45], v[52:53], v[36:37]
	v_mul_f64 v[36:37], v[54:55], v[36:37]
	v_fma_f64 v[36:37], v[52:53], v[38:39], -v[36:37]
	v_mad_u64_u32 v[48:49], s[6:7], s4, v50, v[48:49]
	v_mul_f64 v[44:45], v[44:45], s[0:1]
	v_mul_f64 v[46:47], v[36:37], s[0:1]
	v_add_u32_e32 v49, s2, v49
	global_store_dwordx4 v[48:49], v[44:47], off
	s_nop 1
	v_accvgpr_read_b32 v44, a84
	v_accvgpr_read_b32 v46, a86
	;; [unrolled: 1-line block ×4, first 2 shown]
	v_mul_f64 v[36:37], v[46:47], v[6:7]
	v_fmac_f64_e32 v[36:37], v[44:45], v[4:5]
	v_mul_f64 v[4:5], v[46:47], v[4:5]
	v_fma_f64 v[4:5], v[44:45], v[6:7], -v[4:5]
	v_mad_u64_u32 v[44:45], s[6:7], s4, v51, v[48:49]
	v_mul_f64 v[36:37], v[36:37], s[0:1]
	v_mul_f64 v[38:39], v[4:5], s[0:1]
	v_add_u32_e32 v45, s3, v45
	global_store_dwordx4 v[44:45], v[36:39], off
	s_nop 1
	v_accvgpr_read_b32 v36, a88
	v_accvgpr_read_b32 v38, a90
	;; [unrolled: 1-line block ×4, first 2 shown]
	v_mul_f64 v[4:5], v[38:39], v[30:31]
	v_mul_f64 v[6:7], v[38:39], v[28:29]
	v_fmac_f64_e32 v[4:5], v[36:37], v[28:29]
	v_fma_f64 v[6:7], v[36:37], v[30:31], -v[6:7]
	v_mad_u64_u32 v[28:29], s[6:7], s4, v50, v[44:45]
	v_accvgpr_read_b32 v36, a92
	v_mul_f64 v[4:5], v[4:5], s[0:1]
	v_mul_f64 v[6:7], v[6:7], s[0:1]
	v_add_u32_e32 v29, s2, v29
	v_accvgpr_read_b32 v38, a94
	v_accvgpr_read_b32 v39, a95
	global_store_dwordx4 v[28:29], v[4:7], off
	v_accvgpr_read_b32 v37, a93
	s_nop 0
	v_mul_f64 v[4:5], v[38:39], v[10:11]
	v_mul_f64 v[6:7], v[38:39], v[8:9]
	v_fmac_f64_e32 v[4:5], v[36:37], v[8:9]
	v_fma_f64 v[6:7], v[36:37], v[10:11], -v[6:7]
	v_mad_u64_u32 v[8:9], s[6:7], s4, v50, v[28:29]
	v_accvgpr_read_b32 v28, a96
	v_mul_f64 v[4:5], v[4:5], s[0:1]
	v_mul_f64 v[6:7], v[6:7], s[0:1]
	v_add_u32_e32 v9, s2, v9
	v_accvgpr_read_b32 v30, a98
	v_accvgpr_read_b32 v31, a99
	global_store_dwordx4 v[8:9], v[4:7], off
	v_accvgpr_read_b32 v29, a97
	v_mad_u64_u32 v[8:9], s[6:7], s4, v50, v[8:9]
	v_mul_f64 v[4:5], v[30:31], v[2:3]
	v_fmac_f64_e32 v[4:5], v[28:29], v[0:1]
	v_mul_f64 v[0:1], v[30:31], v[0:1]
	v_fma_f64 v[0:1], v[28:29], v[2:3], -v[0:1]
	v_mul_f64 v[4:5], v[4:5], s[0:1]
	v_mul_f64 v[6:7], v[0:1], s[0:1]
	v_add_u32_e32 v9, s2, v9
	global_store_dwordx4 v[8:9], v[4:7], off
	s_nop 1
	v_accvgpr_read_b32 v4, a100
	v_accvgpr_read_b32 v6, a102
	v_accvgpr_read_b32 v7, a103
	v_accvgpr_read_b32 v5, a101
	v_mul_f64 v[0:1], v[6:7], v[14:15]
	v_mul_f64 v[2:3], v[6:7], v[12:13]
	v_fmac_f64_e32 v[0:1], v[4:5], v[12:13]
	v_fma_f64 v[2:3], v[4:5], v[14:15], -v[2:3]
	v_mad_u64_u32 v[4:5], s[6:7], s4, v50, v[8:9]
	v_accvgpr_read_b32 v6, a104
	v_mul_f64 v[0:1], v[0:1], s[0:1]
	v_mul_f64 v[2:3], v[2:3], s[0:1]
	v_add_u32_e32 v5, s2, v5
	v_accvgpr_read_b32 v8, a106
	v_accvgpr_read_b32 v9, a107
	global_store_dwordx4 v[4:5], v[0:3], off
	v_accvgpr_read_b32 v7, a105
	v_mad_u64_u32 v[4:5], s[6:7], s4, v50, v[4:5]
	v_mul_f64 v[0:1], v[8:9], v[18:19]
	v_mul_f64 v[2:3], v[8:9], v[16:17]
	v_fmac_f64_e32 v[0:1], v[6:7], v[16:17]
	v_fma_f64 v[2:3], v[6:7], v[18:19], -v[2:3]
	v_accvgpr_read_b32 v6, a108
	v_mul_f64 v[0:1], v[0:1], s[0:1]
	v_mul_f64 v[2:3], v[2:3], s[0:1]
	v_add_u32_e32 v5, s2, v5
	v_accvgpr_read_b32 v8, a110
	v_accvgpr_read_b32 v9, a111
	global_store_dwordx4 v[4:5], v[0:3], off
	v_accvgpr_read_b32 v7, a109
	v_mad_u64_u32 v[4:5], s[6:7], s4, v50, v[4:5]
	v_mul_f64 v[0:1], v[8:9], v[22:23]
	v_mul_f64 v[2:3], v[8:9], v[20:21]
	v_fmac_f64_e32 v[0:1], v[6:7], v[20:21]
	v_fma_f64 v[2:3], v[6:7], v[22:23], -v[2:3]
	;; [unrolled: 13-line block ×4, first 2 shown]
	v_accvgpr_read_b32 v6, a120
	v_mul_f64 v[0:1], v[0:1], s[0:1]
	v_mul_f64 v[2:3], v[2:3], s[0:1]
	v_add_u32_e32 v5, s2, v5
	v_accvgpr_read_b32 v8, a122
	v_accvgpr_read_b32 v9, a123
	global_store_dwordx4 v[4:5], v[0:3], off
	v_accvgpr_read_b32 v7, a121
	s_waitcnt lgkmcnt(0)
	v_mul_f64 v[0:1], v[8:9], v[34:35]
	v_mul_f64 v[2:3], v[8:9], v[32:33]
	v_fmac_f64_e32 v[0:1], v[6:7], v[32:33]
	v_fma_f64 v[2:3], v[6:7], v[34:35], -v[2:3]
	v_mul_f64 v[0:1], v[0:1], s[0:1]
	v_mul_f64 v[2:3], v[2:3], s[0:1]
	v_mad_u64_u32 v[4:5], s[0:1], s4, v50, v[4:5]
	v_add_u32_e32 v5, s2, v5
	global_store_dwordx4 v[4:5], v[0:3], off
.LBB0_10:
	s_endpgm
	.section	.rodata,"a",@progbits
	.p2align	6, 0x0
	.amdhsa_kernel bluestein_single_fwd_len480_dim1_dp_op_CI_CI
		.amdhsa_group_segment_fixed_size 30720
		.amdhsa_private_segment_fixed_size 132
		.amdhsa_kernarg_size 104
		.amdhsa_user_sgpr_count 2
		.amdhsa_user_sgpr_dispatch_ptr 0
		.amdhsa_user_sgpr_queue_ptr 0
		.amdhsa_user_sgpr_kernarg_segment_ptr 1
		.amdhsa_user_sgpr_dispatch_id 0
		.amdhsa_user_sgpr_kernarg_preload_length 0
		.amdhsa_user_sgpr_kernarg_preload_offset 0
		.amdhsa_user_sgpr_private_segment_size 0
		.amdhsa_uses_dynamic_stack 0
		.amdhsa_enable_private_segment 1
		.amdhsa_system_sgpr_workgroup_id_x 1
		.amdhsa_system_sgpr_workgroup_id_y 0
		.amdhsa_system_sgpr_workgroup_id_z 0
		.amdhsa_system_sgpr_workgroup_info 0
		.amdhsa_system_vgpr_workitem_id 0
		.amdhsa_next_free_vgpr 512
		.amdhsa_next_free_sgpr 22
		.amdhsa_accum_offset 256
		.amdhsa_reserve_vcc 1
		.amdhsa_float_round_mode_32 0
		.amdhsa_float_round_mode_16_64 0
		.amdhsa_float_denorm_mode_32 3
		.amdhsa_float_denorm_mode_16_64 3
		.amdhsa_dx10_clamp 1
		.amdhsa_ieee_mode 1
		.amdhsa_fp16_overflow 0
		.amdhsa_tg_split 0
		.amdhsa_exception_fp_ieee_invalid_op 0
		.amdhsa_exception_fp_denorm_src 0
		.amdhsa_exception_fp_ieee_div_zero 0
		.amdhsa_exception_fp_ieee_overflow 0
		.amdhsa_exception_fp_ieee_underflow 0
		.amdhsa_exception_fp_ieee_inexact 0
		.amdhsa_exception_int_div_zero 0
	.end_amdhsa_kernel
	.text
.Lfunc_end0:
	.size	bluestein_single_fwd_len480_dim1_dp_op_CI_CI, .Lfunc_end0-bluestein_single_fwd_len480_dim1_dp_op_CI_CI
                                        ; -- End function
	.section	.AMDGPU.csdata,"",@progbits
; Kernel info:
; codeLenInByte = 31016
; NumSgprs: 28
; NumVgprs: 256
; NumAgprs: 256
; TotalNumVgprs: 512
; ScratchSize: 132
; MemoryBound: 0
; FloatMode: 240
; IeeeMode: 1
; LDSByteSize: 30720 bytes/workgroup (compile time only)
; SGPRBlocks: 3
; VGPRBlocks: 63
; NumSGPRsForWavesPerEU: 28
; NumVGPRsForWavesPerEU: 512
; AccumOffset: 256
; Occupancy: 1
; WaveLimiterHint : 1
; COMPUTE_PGM_RSRC2:SCRATCH_EN: 1
; COMPUTE_PGM_RSRC2:USER_SGPR: 2
; COMPUTE_PGM_RSRC2:TRAP_HANDLER: 0
; COMPUTE_PGM_RSRC2:TGID_X_EN: 1
; COMPUTE_PGM_RSRC2:TGID_Y_EN: 0
; COMPUTE_PGM_RSRC2:TGID_Z_EN: 0
; COMPUTE_PGM_RSRC2:TIDIG_COMP_CNT: 0
; COMPUTE_PGM_RSRC3_GFX90A:ACCUM_OFFSET: 63
; COMPUTE_PGM_RSRC3_GFX90A:TG_SPLIT: 0
	.text
	.p2alignl 6, 3212836864
	.fill 256, 4, 3212836864
	.type	__hip_cuid_672508894f69ae96,@object ; @__hip_cuid_672508894f69ae96
	.section	.bss,"aw",@nobits
	.globl	__hip_cuid_672508894f69ae96
__hip_cuid_672508894f69ae96:
	.byte	0                               ; 0x0
	.size	__hip_cuid_672508894f69ae96, 1

	.ident	"AMD clang version 19.0.0git (https://github.com/RadeonOpenCompute/llvm-project roc-6.4.0 25133 c7fe45cf4b819c5991fe208aaa96edf142730f1d)"
	.section	".note.GNU-stack","",@progbits
	.addrsig
	.addrsig_sym __hip_cuid_672508894f69ae96
	.amdgpu_metadata
---
amdhsa.kernels:
  - .agpr_count:     256
    .args:
      - .actual_access:  read_only
        .address_space:  global
        .offset:         0
        .size:           8
        .value_kind:     global_buffer
      - .actual_access:  read_only
        .address_space:  global
        .offset:         8
        .size:           8
        .value_kind:     global_buffer
      - .actual_access:  read_only
        .address_space:  global
        .offset:         16
        .size:           8
        .value_kind:     global_buffer
      - .actual_access:  read_only
        .address_space:  global
        .offset:         24
        .size:           8
        .value_kind:     global_buffer
      - .actual_access:  read_only
        .address_space:  global
        .offset:         32
        .size:           8
        .value_kind:     global_buffer
      - .offset:         40
        .size:           8
        .value_kind:     by_value
      - .address_space:  global
        .offset:         48
        .size:           8
        .value_kind:     global_buffer
      - .address_space:  global
        .offset:         56
        .size:           8
        .value_kind:     global_buffer
      - .address_space:  global
        .offset:         64
        .size:           8
        .value_kind:     global_buffer
      - .address_space:  global
        .offset:         72
        .size:           8
        .value_kind:     global_buffer
      - .offset:         80
        .size:           4
        .value_kind:     by_value
      - .address_space:  global
        .offset:         88
        .size:           8
        .value_kind:     global_buffer
      - .address_space:  global
        .offset:         96
        .size:           8
        .value_kind:     global_buffer
    .group_segment_fixed_size: 30720
    .kernarg_segment_align: 8
    .kernarg_segment_size: 104
    .language:       OpenCL C
    .language_version:
      - 2
      - 0
    .max_flat_workgroup_size: 64
    .name:           bluestein_single_fwd_len480_dim1_dp_op_CI_CI
    .private_segment_fixed_size: 132
    .sgpr_count:     28
    .sgpr_spill_count: 0
    .symbol:         bluestein_single_fwd_len480_dim1_dp_op_CI_CI.kd
    .uniform_work_group_size: 1
    .uses_dynamic_stack: false
    .vgpr_count:     512
    .vgpr_spill_count: 32
    .wavefront_size: 64
amdhsa.target:   amdgcn-amd-amdhsa--gfx950
amdhsa.version:
  - 1
  - 2
...

	.end_amdgpu_metadata
